;; amdgpu-corpus repo=ROCm/rocFFT kind=compiled arch=gfx1201 opt=O3
	.text
	.amdgcn_target "amdgcn-amd-amdhsa--gfx1201"
	.amdhsa_code_object_version 6
	.protected	bluestein_single_back_len2002_dim1_half_op_CI_CI ; -- Begin function bluestein_single_back_len2002_dim1_half_op_CI_CI
	.globl	bluestein_single_back_len2002_dim1_half_op_CI_CI
	.p2align	8
	.type	bluestein_single_back_len2002_dim1_half_op_CI_CI,@function
bluestein_single_back_len2002_dim1_half_op_CI_CI: ; @bluestein_single_back_len2002_dim1_half_op_CI_CI
; %bb.0:
	s_load_b128 s[8:11], s[0:1], 0x28
	v_mul_u32_u24_e32 v1, 0x169, v0
	s_mov_b32 s2, exec_lo
	v_mov_b32_e32 v31, 0
	s_delay_alu instid0(VALU_DEP_2) | instskip(NEXT) | instid1(VALU_DEP_1)
	v_lshrrev_b32_e32 v1, 16, v1
	v_add_nc_u32_e32 v30, ttmp9, v1
	s_wait_kmcnt 0x0
	s_delay_alu instid0(VALU_DEP_1)
	v_cmpx_gt_u64_e64 s[8:9], v[30:31]
	s_cbranch_execz .LBB0_31
; %bb.1:
	s_clause 0x1
	s_load_b128 s[4:7], s[0:1], 0x18
	s_load_b64 s[16:17], s[0:1], 0x0
	v_mul_lo_u16 v1, 0xb6, v1
	s_movk_i32 s2, 0xfccd
	s_mov_b32 s3, -1
	s_delay_alu instid0(VALU_DEP_1) | instskip(NEXT) | instid1(VALU_DEP_1)
	v_sub_nc_u16 v7, v0, v1
	v_and_b32_e32 v67, 0xffff, v7
	s_delay_alu instid0(VALU_DEP_1)
	v_lshlrev_b32_e32 v53, 2, v67
	s_wait_kmcnt 0x0
	s_load_b128 s[12:15], s[4:5], 0x0
	s_clause 0x9
	global_load_b32 v70, v53, s[16:17] offset:4004
	global_load_b32 v66, v53, s[16:17] offset:4732
	;; [unrolled: 1-line block ×3, first 2 shown]
	global_load_b32 v73, v53, s[16:17]
	global_load_b32 v69, v53, s[16:17] offset:728
	global_load_b32 v64, v53, s[16:17] offset:1456
	;; [unrolled: 1-line block ×6, first 2 shown]
	v_add_nc_u32_e32 v14, 0x1200, v53
	s_wait_kmcnt 0x0
	v_mad_co_u64_u32 v[0:1], null, s14, v30, 0
	v_mad_co_u64_u32 v[2:3], null, s12, v67, 0
	s_mul_u64 s[4:5], s[12:13], 0x3e9
	s_mul_u64 s[2:3], s[12:13], s[2:3]
	v_add_co_u32 v28, s12, s16, v53
	s_lshl_b64 s[2:3], s[2:3], 2
	s_wait_alu 0xf1ff
	v_add_co_ci_u32_e64 v29, null, s17, 0, s12
	s_delay_alu instid0(VALU_DEP_3) | instskip(NEXT) | instid1(VALU_DEP_1)
	v_mad_co_u64_u32 v[4:5], null, s15, v30, v[1:2]
	v_mad_co_u64_u32 v[5:6], null, s13, v67, v[3:4]
	v_dual_mov_b32 v1, v4 :: v_dual_add_nc_u32 v4, 0x500, v53
	s_delay_alu instid0(VALU_DEP_1) | instskip(NEXT) | instid1(VALU_DEP_3)
	v_lshlrev_b64_e32 v[0:1], 2, v[0:1]
	v_mov_b32_e32 v3, v5
	s_delay_alu instid0(VALU_DEP_2) | instskip(NEXT) | instid1(VALU_DEP_2)
	v_add_co_u32 v0, vcc_lo, s10, v0
	v_lshlrev_b64_e32 v[2:3], 2, v[2:3]
	s_delay_alu instid0(VALU_DEP_4) | instskip(SKIP_1) | instid1(VALU_DEP_2)
	v_add_co_ci_u32_e32 v1, vcc_lo, s11, v1, vcc_lo
	s_lshl_b64 s[10:11], s[4:5], 2
	v_add_co_u32 v0, vcc_lo, v0, v2
	s_wait_alu 0xfffd
	s_delay_alu instid0(VALU_DEP_2) | instskip(SKIP_1) | instid1(VALU_DEP_2)
	v_add_co_ci_u32_e32 v1, vcc_lo, v1, v3, vcc_lo
	s_wait_alu 0xfffe
	v_add_co_u32 v2, vcc_lo, v0, s10
	s_wait_alu 0xfffd
	s_delay_alu instid0(VALU_DEP_2)
	v_add_co_ci_u32_e32 v3, vcc_lo, s11, v1, vcc_lo
	s_clause 0x1
	global_load_b32 v5, v[0:1], off
	global_load_b32 v6, v[2:3], off
	v_add_co_u32 v0, vcc_lo, v2, s2
	s_wait_alu 0xfffd
	v_add_co_ci_u32_e32 v1, vcc_lo, s3, v3, vcc_lo
	s_delay_alu instid0(VALU_DEP_2) | instskip(SKIP_1) | instid1(VALU_DEP_2)
	v_add_co_u32 v2, vcc_lo, v0, s10
	s_wait_alu 0xfffd
	v_add_co_ci_u32_e32 v3, vcc_lo, s11, v1, vcc_lo
	global_load_b32 v8, v[0:1], off
	v_add_co_u32 v0, vcc_lo, v2, s2
	s_wait_alu 0xfffd
	v_add_co_ci_u32_e32 v1, vcc_lo, s3, v3, vcc_lo
	s_clause 0x1
	global_load_b32 v9, v[2:3], off
	global_load_b32 v10, v[0:1], off
	v_add_co_u32 v0, vcc_lo, v0, s10
	s_wait_alu 0xfffd
	v_add_co_ci_u32_e32 v1, vcc_lo, s11, v1, vcc_lo
	s_delay_alu instid0(VALU_DEP_2) | instskip(SKIP_1) | instid1(VALU_DEP_2)
	v_add_co_u32 v2, vcc_lo, v0, s2
	s_wait_alu 0xfffd
	v_add_co_ci_u32_e32 v3, vcc_lo, s3, v1, vcc_lo
	global_load_b32 v11, v[0:1], off
	v_add_co_u32 v0, vcc_lo, v2, s10
	s_wait_alu 0xfffd
	v_add_co_ci_u32_e32 v1, vcc_lo, s11, v3, vcc_lo
	global_load_b32 v12, v[2:3], off
	;; [unrolled: 4-line block ×4, first 2 shown]
	global_load_b32 v3, v[0:1], off
	s_load_b64 s[8:9], s[0:1], 0x38
	s_load_b128 s[4:7], s[6:7], 0x0
	v_cmp_gt_u16_e32 vcc_lo, 0x5b, v7
	s_wait_loadcnt 0x10
	v_lshrrev_b32_e32 v74, 16, v73
	v_lshrrev_b32_e32 v72, 16, v70
	s_wait_loadcnt 0xf
	v_lshrrev_b32_e32 v71, 16, v69
	v_lshrrev_b32_e32 v68, 16, v66
	;; [unrolled: 3-line block ×3, first 2 shown]
	s_wait_loadcnt 0xd
	v_lshrrev_b32_e32 v61, 16, v60
	s_wait_loadcnt 0xc
	v_lshrrev_b32_e32 v59, 16, v58
	;; [unrolled: 2-line block ×5, first 2 shown]
	v_mul_f16_e32 v16, v74, v5
	s_wait_loadcnt 0x8
	v_lshrrev_b32_e32 v18, 16, v6
	v_mul_f16_e32 v19, v72, v6
	v_mul_f16_e32 v17, v74, v15
	v_fma_f16 v15, v73, v15, -v16
	s_delay_alu instid0(VALU_DEP_2)
	v_fmac_f16_e32 v17, v73, v5
	v_mul_f16_e32 v5, v72, v18
	v_fma_f16 v18, v70, v18, -v19
	s_wait_loadcnt 0x7
	v_lshrrev_b32_e32 v16, 16, v8
	v_mul_f16_e32 v19, v71, v8
	v_pack_b32_f16 v15, v17, v15
	v_fmac_f16_e32 v5, v70, v6
	s_delay_alu instid0(VALU_DEP_4)
	v_mul_f16_e32 v6, v71, v16
	s_wait_loadcnt 0x6
	v_lshrrev_b32_e32 v17, 16, v9
	v_mul_f16_e32 v20, v68, v9
	v_fma_f16 v16, v69, v16, -v19
	v_pack_b32_f16 v5, v5, v18
	v_fmac_f16_e32 v6, v69, v8
	v_mul_f16_e32 v8, v68, v17
	s_wait_loadcnt 0x5
	v_lshrrev_b32_e32 v18, 16, v10
	v_fma_f16 v17, v66, v17, -v20
	v_mul_f16_e32 v19, v65, v10
	ds_store_b32 v53, v5 offset:4004
	v_pack_b32_f16 v5, v6, v16
	v_fmac_f16_e32 v8, v66, v9
	v_mul_f16_e32 v6, v65, v18
	v_fma_f16 v9, v64, v18, -v19
	s_wait_loadcnt 0x4
	v_lshrrev_b32_e32 v16, 16, v11
	v_mul_f16_e32 v18, v63, v11
	ds_store_2addr_b32 v53, v15, v5 offset1:182
	v_pack_b32_f16 v5, v8, v17
	v_fmac_f16_e32 v6, v64, v10
	s_wait_loadcnt 0x3
	v_lshrrev_b32_e32 v8, 16, v12
	v_mul_f16_e32 v10, v63, v16
	v_fma_f16 v15, v62, v16, -v18
	v_mul_f16_e32 v16, v61, v12
	v_pack_b32_f16 v6, v6, v9
	v_mul_f16_e32 v9, v61, v8
	v_fmac_f16_e32 v10, v62, v11
	s_wait_loadcnt 0x2
	v_lshrrev_b32_e32 v11, 16, v13
	v_fma_f16 v8, v60, v8, -v16
	v_mul_f16_e32 v16, v59, v13
	v_fmac_f16_e32 v9, v60, v12
	s_wait_loadcnt 0x1
	v_lshrrev_b32_e32 v12, 16, v2
	s_wait_loadcnt 0x0
	v_lshrrev_b32_e32 v18, 16, v3
	v_mul_f16_e32 v17, v59, v11
	v_fma_f16 v11, v58, v11, -v16
	v_mul_f16_e32 v16, v57, v2
	v_mul_f16_e32 v19, v57, v12
	;; [unrolled: 1-line block ×4, first 2 shown]
	v_fmac_f16_e32 v17, v58, v13
	v_fma_f16 v12, v56, v12, -v16
	v_fmac_f16_e32 v19, v56, v2
	v_fma_f16 v2, v54, v18, -v20
	v_fmac_f16_e32 v21, v54, v3
	v_pack_b32_f16 v3, v10, v15
	v_pack_b32_f16 v8, v9, v8
	;; [unrolled: 1-line block ×5, first 2 shown]
	v_add_nc_u32_e32 v11, 0x1800, v53
	ds_store_2addr_b32 v14, v5, v3 offset0:31 offset1:213
	ds_store_2addr_b32 v4, v6, v8 offset0:44 offset1:226
	ds_store_b32 v53, v10 offset:2912
	ds_store_2addr_b32 v11, v9, v2 offset0:11 offset1:193
	s_and_saveexec_b32 s12, vcc_lo
	s_cbranch_execz .LBB0_3
; %bb.2:
	v_add_co_u32 v0, s2, v0, s2
	s_wait_alu 0xf1ff
	v_add_co_ci_u32_e64 v1, s2, s3, v1, s2
	s_delay_alu instid0(VALU_DEP_2) | instskip(SKIP_1) | instid1(VALU_DEP_2)
	v_add_co_u32 v2, s2, v0, s10
	s_wait_alu 0xf1ff
	v_add_co_ci_u32_e64 v3, s2, s11, v1, s2
	s_clause 0x1
	global_load_b32 v5, v[28:29], off offset:3640
	global_load_b32 v6, v[28:29], off offset:7644
	global_load_b32 v0, v[0:1], off
	global_load_b32 v1, v[2:3], off
	s_wait_loadcnt 0x3
	v_lshrrev_b32_e32 v2, 16, v5
	s_wait_loadcnt 0x2
	v_lshrrev_b32_e32 v3, 16, v6
	;; [unrolled: 2-line block ×4, first 2 shown]
	v_mul_f16_e32 v9, v2, v0
	s_delay_alu instid0(VALU_DEP_3) | instskip(NEXT) | instid1(VALU_DEP_3)
	v_mul_f16_e32 v2, v2, v7
	v_mul_f16_e32 v10, v3, v8
	;; [unrolled: 1-line block ×3, first 2 shown]
	s_delay_alu instid0(VALU_DEP_4) | instskip(NEXT) | instid1(VALU_DEP_4)
	v_fma_f16 v7, v5, v7, -v9
	v_fmac_f16_e32 v2, v5, v0
	s_delay_alu instid0(VALU_DEP_4) | instskip(NEXT) | instid1(VALU_DEP_4)
	v_fmac_f16_e32 v10, v6, v1
	v_fma_f16 v0, v6, v8, -v3
	s_delay_alu instid0(VALU_DEP_3) | instskip(NEXT) | instid1(VALU_DEP_2)
	v_pack_b32_f16 v1, v2, v7
	v_pack_b32_f16 v0, v10, v0
	ds_store_b32 v53, v1 offset:3640
	ds_store_b32 v53, v0 offset:7644
.LBB0_3:
	s_wait_alu 0xfffe
	s_or_b32 exec_lo, exec_lo, s12
	v_add_nc_u32_e32 v0, 0xf00, v53
	v_add_nc_u32_e32 v5, 0x1500, v53
	global_wb scope:SCOPE_SE
	s_wait_dscnt 0x0
	s_wait_kmcnt 0x0
	s_barrier_signal -1
	s_barrier_wait -1
	global_inv scope:SCOPE_SE
	ds_load_2addr_b32 v[2:3], v53 offset1:182
	ds_load_2addr_b32 v[6:7], v0 offset0:41 offset1:223
	ds_load_2addr_b32 v[0:1], v4 offset0:44 offset1:226
	;; [unrolled: 1-line block ×3, first 2 shown]
	ds_load_b32 v8, v53 offset:2912
	ds_load_b32 v9, v53 offset:6916
                                        ; implicit-def: $vgpr10
                                        ; implicit-def: $vgpr11
	s_and_saveexec_b32 s2, vcc_lo
	s_cbranch_execz .LBB0_5
; %bb.4:
	ds_load_b32 v10, v53 offset:3640
	ds_load_b32 v11, v53 offset:7644
.LBB0_5:
	s_wait_alu 0xfffe
	s_or_b32 exec_lo, exec_lo, s2
	s_load_b64 s[2:3], s[0:1], 0x8
	s_wait_dscnt 0x4
	v_pk_add_f16 v13, v2, v6 neg_lo:[0,1] neg_hi:[0,1]
	v_lshlrev_b16 v6, 1, v67
	v_add_co_u32 v24, null, 0xb6, v67
	v_add_co_u32 v25, null, 0x38e, v67
	v_pk_add_f16 v17, v3, v7 neg_lo:[0,1] neg_hi:[0,1]
	s_wait_dscnt 0x0
	v_pk_add_f16 v15, v10, v11 neg_lo:[0,1] neg_hi:[0,1]
	v_pk_add_f16 v23, v0, v4 neg_lo:[0,1] neg_hi:[0,1]
	;; [unrolled: 1-line block ×4, first 2 shown]
	v_and_b32_e32 v4, 0xffff, v6
	v_lshlrev_b32_e32 v40, 3, v67
	v_pk_fma_f16 v14, v10, 2.0, v15 op_sel_hi:[1,0,1] neg_lo:[0,0,1] neg_hi:[0,0,1]
	v_pk_fma_f16 v12, v2, 2.0, v13 op_sel_hi:[1,0,1] neg_lo:[0,0,1] neg_hi:[0,0,1]
	v_lshlrev_b32_e32 v79, 3, v24
	v_lshlrev_b32_e32 v78, 2, v4
	v_pk_fma_f16 v16, v3, 2.0, v17 op_sel_hi:[1,0,1] neg_lo:[0,0,1] neg_hi:[0,0,1]
	v_pk_fma_f16 v22, v0, 2.0, v23 op_sel_hi:[1,0,1] neg_lo:[0,0,1] neg_hi:[0,0,1]
	;; [unrolled: 1-line block ×4, first 2 shown]
	v_lshlrev_b32_e32 v80, 3, v25
	v_add_nc_u32_e32 v0, 0xa00, v40
	global_wb scope:SCOPE_SE
	s_wait_kmcnt 0x0
	s_barrier_signal -1
	s_barrier_wait -1
	global_inv scope:SCOPE_SE
	ds_store_b64 v78, v[12:13]
	ds_store_b64 v79, v[16:17]
	ds_store_2addr_b64 v0, v[22:23], v[20:21] offset0:44 offset1:226
	ds_store_b64 v40, v[18:19] offset:5824
	s_and_saveexec_b32 s0, vcc_lo
	s_cbranch_execz .LBB0_7
; %bb.6:
	ds_store_b64 v80, v[14:15]
.LBB0_7:
	s_wait_alu 0xfffe
	s_or_b32 exec_lo, exec_lo, s0
	v_cmp_gt_u16_e64 s0, 0x9a, v67
	v_lshrrev_b32_e32 v43, 16, v16
	v_lshrrev_b32_e32 v42, 16, v22
	;; [unrolled: 1-line block ×5, first 2 shown]
	global_wb scope:SCOPE_SE
	s_wait_dscnt 0x0
	s_barrier_signal -1
	s_barrier_wait -1
	global_inv scope:SCOPE_SE
                                        ; implicit-def: $vgpr47
                                        ; implicit-def: $vgpr50
	s_and_saveexec_b32 s1, s0
	s_cbranch_execz .LBB0_9
; %bb.8:
	v_add_nc_u32_e32 v0, 0x400, v53
	v_add_nc_u32_e32 v1, 0x900, v53
	;; [unrolled: 1-line block ×4, first 2 shown]
	ds_load_2addr_b32 v[12:13], v53 offset1:154
	ds_load_2addr_b32 v[16:17], v0 offset0:52 offset1:206
	ds_load_2addr_b32 v[22:23], v1 offset0:40 offset1:194
	ds_load_2addr_b32 v[20:21], v2 offset0:28 offset1:182
	ds_load_2addr_b32 v[18:19], v3 offset0:80 offset1:234
	v_add_nc_u32_e32 v0, 0x1800, v53
	ds_load_b32 v47, v53 offset:7392
	ds_load_2addr_b32 v[14:15], v0 offset0:4 offset1:158
	s_wait_dscnt 0x6
	v_lshrrev_b32_e32 v25, 16, v12
	s_wait_dscnt 0x5
	v_lshrrev_b32_e32 v43, 16, v16
	;; [unrolled: 2-line block ×6, first 2 shown]
.LBB0_9:
	s_wait_alu 0xfffe
	s_or_b32 exec_lo, exec_lo, s1
	v_and_b32_e32 v75, 1, v67
	v_lshrrev_b32_e32 v44, 16, v13
	v_lshrrev_b32_e32 v51, 16, v17
	;; [unrolled: 1-line block ×4, first 2 shown]
	v_mul_u32_u24_e32 v0, 12, v75
	v_lshrrev_b32_e32 v92, 16, v19
	s_wait_dscnt 0x0
	v_lshrrev_b32_e32 v93, 16, v14
	v_lshrrev_b32_e32 v94, 16, v15
	v_lshlrev_b32_e32 v0, 2, v0
	s_clause 0x2
	global_load_b128 v[8:11], v0, s[2:3]
	global_load_b128 v[4:7], v0, s[2:3] offset:16
	global_load_b128 v[0:3], v0, s[2:3] offset:32
	global_wb scope:SCOPE_SE
	s_wait_loadcnt 0x0
	s_barrier_signal -1
	s_barrier_wait -1
	global_inv scope:SCOPE_SE
	v_lshrrev_b32_e32 v90, 16, v8
	v_lshrrev_b32_e32 v91, 16, v9
	;; [unrolled: 1-line block ×12, first 2 shown]
	v_mul_f16_e32 v45, v44, v90
	v_mul_f16_e32 v41, v13, v90
	;; [unrolled: 1-line block ×21, first 2 shown]
	v_fma_f16 v46, v13, v8, -v45
	v_fmac_f16_e32 v41, v44, v8
	v_fma_f16 v13, v47, v3, -v105
	v_fmac_f16_e32 v27, v50, v3
	v_mul_f16_e32 v35, v20, v86
	v_mul_f16_e32 v34, v21, v85
	v_mul_f16_e32 v101, v48, v84
	v_fma_f16 v45, v16, v9, -v95
	v_fmac_f16_e32 v39, v43, v9
	v_fma_f16 v44, v17, v10, -v96
	v_fmac_f16_e32 v38, v51, v10
	;; [unrolled: 2-line block ×4, first 2 shown]
	v_fma_f16 v23, v20, v5, -v99
	v_fma_f16 v22, v21, v6, -v100
	v_fmac_f16_e32 v33, v48, v7
	v_fma_f16 v16, v19, v0, -v102
	v_fmac_f16_e32 v32, v92, v0
	;; [unrolled: 2-line block ×4, first 2 shown]
	v_sub_f16_e32 v20, v46, v13
	v_sub_f16_e32 v21, v41, v27
	v_fmac_f16_e32 v35, v49, v5
	v_fmac_f16_e32 v34, v76, v6
	v_fma_f16 v17, v18, v7, -v101
	v_add_f16_e32 v104, v46, v13
	v_add_f16_e32 v105, v41, v27
	v_sub_f16_e32 v47, v45, v15
	v_sub_f16_e32 v48, v39, v26
	;; [unrolled: 1-line block ×7, first 2 shown]
	v_mul_f16_e32 v18, 0xb770, v21
	v_mul_f16_e32 v92, 0xb770, v20
	;; [unrolled: 1-line block ×5, first 2 shown]
	v_mul_f16_e64 v129, 0xbbf1, v20
	v_mul_f16_e64 v134, 0xbb7b, v21
	;; [unrolled: 1-line block ×7, first 2 shown]
	v_add_f16_e32 v108, v45, v15
	v_add_f16_e32 v109, v39, v26
	v_sub_f16_e32 v99, v42, v17
	v_sub_f16_e32 v100, v35, v34
	;; [unrolled: 1-line block ×3, first 2 shown]
	v_mul_f16_e32 v19, 0xba95, v48
	v_mul_f16_e32 v93, 0xba95, v47
	v_mul_f16_e32 v116, 0xbb7b, v48
	v_mul_f16_e32 v120, 0xbb7b, v47
	v_mul_f16_e32 v126, 0xb3a8, v48
	v_mul_f16_e64 v131, 0xb3a8, v47
	v_mul_f16_e64 v132, 0x394e, v48
	v_mul_f16_e64 v146, 0x394e, v47
	v_mul_f16_e64 v153, 0x3bf1, v48
	v_mul_f16_e64 v160, 0x3bf1, v47
	v_mul_f16_e64 v163, 0x3770, v48
	v_mul_f16_e64 v172, 0x3770, v47
	v_mul_f16_e32 v94, 0xbbf1, v49
	v_mul_f16_e32 v95, 0xbbf1, v50
	v_mul_f16_e32 v117, 0xb3a8, v49
	v_mul_f16_e32 v119, 0xb3a8, v50
	v_mul_f16_e32 v125, 0x3b7b, v49
	v_mul_f16_e64 v133, 0x3b7b, v50
	v_mul_f16_e64 v135, 0x3770, v49
	v_mul_f16_e64 v148, 0x3770, v50
	v_mul_f16_e64 v155, 0xba95, v49
	v_mul_f16_e64 v159, 0xba95, v50
	v_mul_f16_e64 v167, 0xb94e, v49
	v_mul_f16_e64 v174, 0xb94e, v50
	;; [unrolled: 12-line block ×3, first 2 shown]
	v_mul_f16_e32 v98, 0xb94e, v76
	v_mul_f16_e32 v110, 0x3bf1, v76
	;; [unrolled: 1-line block ×3, first 2 shown]
	v_mul_f16_e64 v140, 0x33a8, v76
	v_mul_f16_e64 v156, 0x3770, v76
	v_mul_f16_e64 v168, 0xbb7b, v76
	v_fmamk_f16 v20, v104, 0x3b15, v18
	v_fma_f16 v21, v105, 0x3b15, -v92
	v_fmamk_f16 v47, v104, 0x388b, v113
	v_fma_f16 v48, v105, 0x388b, -v118
	;; [unrolled: 2-line block ×3, first 2 shown]
	v_fma_f16 v51, 0xb5ac, v104, v134
	v_fma_f16 v52, v105, 0xb5ac, -v143
	v_fma_f16 v76, 0xb9fd, v104, v151
	v_fma_f16 v183, v105, 0xb9fd, -v157
	;; [unrolled: 2-line block ×3, first 2 shown]
	v_add_f16_e64 v128, v44, v14
	v_add_f16_e64 v130, v38, v31
	v_mul_f16_e32 v106, 0xb94e, v99
	v_mul_f16_e32 v122, 0x3bf1, v99
	v_mul_f16_e64 v137, 0xba95, v99
	v_mul_f16_e64 v147, 0x33a8, v99
	;; [unrolled: 1-line block ×4, first 2 shown]
	v_mul_f16_e32 v99, 0xb3a8, v100
	v_mul_f16_e32 v107, 0xb3a8, v101
	v_mul_f16_e32 v112, 0x3770, v100
	v_mul_f16_e32 v115, 0x3770, v101
	v_mul_f16_e32 v114, 0xb94e, v100
	v_mul_f16_e64 v139, 0xb94e, v101
	v_mul_f16_e64 v141, 0x3a95, v100
	;; [unrolled: 1-line block ×7, first 2 shown]
	v_fmamk_f16 v100, v108, 0x388b, v19
	v_fma_f16 v101, v109, 0x388b, -v93
	v_fmamk_f16 v102, v108, 0xb5ac, v116
	v_fma_f16 v103, v109, 0xb5ac, -v120
	v_fma_f16 v178, 0xbbc4, v108, v126
	v_fma_f16 v179, v109, 0xbbc4, -v131
	v_fma_f16 v180, 0xb9fd, v108, v132
	;; [unrolled: 2-line block ×4, first 2 shown]
	v_fma_f16 v188, v109, 0x3b15, -v172
	v_add_f16_e32 v20, v12, v20
	v_add_f16_e32 v21, v25, v21
	;; [unrolled: 1-line block ×9, first 2 shown]
	v_add_f16_e64 v183, v25, v183
	v_add_f16_e64 v185, v12, v185
	;; [unrolled: 1-line block ×5, first 2 shown]
	v_fma_f16 v189, 0x2fb7, v128, v94
	v_fma_f16 v190, v130, 0x2fb7, -v95
	v_fma_f16 v191, 0xbbc4, v128, v117
	v_fma_f16 v192, v130, 0xbbc4, -v119
	;; [unrolled: 2-line block ×6, first 2 shown]
	v_add_f16_e32 v20, v100, v20
	v_add_f16_e32 v21, v101, v21
	;; [unrolled: 1-line block ×4, first 2 shown]
	v_add_f16_e64 v49, v178, v49
	v_add_f16_e64 v50, v179, v50
	;; [unrolled: 1-line block ×10, first 2 shown]
	v_fma_f16 v201, 0xb5ac, v142, v96
	v_fma_f16 v202, v145, 0xb5ac, -v97
	v_fma_f16 v203, 0xb9fd, v142, v111
	v_fma_f16 v204, v145, 0xb9fd, -v121
	v_fma_f16 v205, 0x3b15, v142, v124
	v_fma_f16 v206, v145, 0x3b15, -v136
	v_fma_f16 v207, 0x2fb7, v142, v138
	v_fma_f16 v208, v145, 0x2fb7, -v144
	v_fma_f16 v209, 0xbbc4, v142, v154
	v_fma_f16 v210, v145, 0xbbc4, -v162
	v_fma_f16 v211, 0x388b, v142, v165
	v_fma_f16 v212, v145, 0x388b, -v175
	v_add_f16_e64 v20, v189, v20
	v_add_f16_e64 v21, v190, v21
	;; [unrolled: 1-line block ×14, first 2 shown]
	v_fma_f16 v213, 0xb9fd, v149, v98
	v_fma_f16 v214, v150, 0xb9fd, -v106
	v_fma_f16 v215, 0x2fb7, v149, v110
	v_fma_f16 v216, v150, 0x2fb7, -v122
	;; [unrolled: 2-line block ×6, first 2 shown]
	v_add_f16_e64 v20, v201, v20
	v_add_f16_e64 v21, v202, v21
	;; [unrolled: 1-line block ×12, first 2 shown]
	v_fma_f16 v225, 0xbbc4, v161, v99
	v_fma_f16 v226, v158, 0xbbc4, -v107
	v_fma_f16 v227, 0x3b15, v161, v112
	v_fma_f16 v228, v158, 0x3b15, -v115
	;; [unrolled: 2-line block ×6, first 2 shown]
	v_add_f16_e64 v20, v213, v20
	v_add_f16_e64 v21, v214, v21
	;; [unrolled: 1-line block ×24, first 2 shown]
	v_lshrrev_b32_e32 v76, 1, v67
	s_and_saveexec_b32 s1, s0
	s_cbranch_execz .LBB0_11
; %bb.10:
	v_mul_f16_e64 v179, 0x3b15, v105
	v_mul_f16_e64 v181, 0x388b, v105
	;; [unrolled: 1-line block ×5, first 2 shown]
	v_mul_f16_e32 v105, 0xbbc4, v105
	v_mul_f16_e64 v189, 0x388b, v109
	v_mul_f16_e64 v191, 0xb5ac, v109
	;; [unrolled: 1-line block ×5, first 2 shown]
	v_mul_f16_e32 v109, 0x3b15, v109
	v_add_f16_e64 v105, v173, v105
	v_mul_f16_e64 v178, 0x3b15, v104
	v_mul_f16_e64 v180, 0x388b, v104
	;; [unrolled: 1-line block ×5, first 2 shown]
	v_mul_f16_e32 v104, 0xbbc4, v104
	v_mul_f16_e64 v199, 0x2fb7, v130
	v_mul_f16_e64 v201, 0xbbc4, v130
	v_mul_f16_e64 v203, 0xb5ac, v130
	v_mul_f16_e64 v205, 0x3b15, v130
	v_mul_f16_e64 v207, 0x388b, v130
	v_mul_f16_e64 v130, 0xb9fd, v130
	v_add_f16_e32 v105, v25, v105
	v_add_f16_e64 v109, v172, v109
	v_mul_f16_e64 v188, 0x388b, v108
	v_mul_f16_e64 v190, 0xb5ac, v108
	v_mul_f16_e64 v192, 0xbbc4, v108
	v_mul_f16_e64 v194, 0xb9fd, v108
	v_mul_f16_e64 v196, 0x2fb7, v108
	v_mul_f16_e32 v108, 0x3b15, v108
	v_mul_f16_e64 v209, 0xb5ac, v145
	v_mul_f16_e64 v211, 0xb9fd, v145
	;; [unrolled: 1-line block ×6, first 2 shown]
	v_add_f16_e32 v105, v109, v105
	v_add_f16_e64 v109, v174, v130
	v_sub_f16_e64 v104, v104, v169
	v_sub_f16_e64 v113, v180, v113
	v_mul_f16_e64 v198, 0x2fb7, v128
	v_mul_f16_e64 v200, 0xbbc4, v128
	;; [unrolled: 1-line block ×12, first 2 shown]
	v_add_f16_e32 v105, v109, v105
	v_add_f16_e64 v109, v175, v145
	v_add_f16_e32 v104, v12, v104
	v_sub_f16_e64 v108, v108, v163
	v_add_f16_e32 v113, v12, v113
	v_sub_f16_e64 v116, v190, v116
	v_mul_f16_e64 v208, 0xb5ac, v142
	v_mul_f16_e64 v210, 0xb9fd, v142
	;; [unrolled: 1-line block ×6, first 2 shown]
	v_add_f16_e32 v105, v109, v105
	v_add_f16_e64 v109, v176, v150
	v_mul_f16_e64 v150, 0x2fb7, v158
	v_add_f16_e64 v157, v157, v187
	v_add_f16_e32 v104, v108, v104
	v_sub_f16_e64 v108, v128, v167
	v_add_f16_e32 v113, v116, v113
	v_sub_f16_e64 v116, v200, v117
	v_add_f16_e32 v46, v12, v46
	v_add_f16_e32 v41, v25, v41
	v_mul_f16_e64 v218, 0xb9fd, v149
	v_mul_f16_e64 v220, 0x2fb7, v149
	;; [unrolled: 1-line block ×6, first 2 shown]
	v_add_f16_e32 v105, v109, v105
	v_add_f16_e64 v109, v177, v150
	v_add_f16_e64 v150, v25, v157
	;; [unrolled: 1-line block ×3, first 2 shown]
	v_add_f16_e32 v104, v108, v104
	v_sub_f16_e64 v108, v142, v165
	v_add_f16_e32 v113, v116, v113
	v_sub_f16_e64 v111, v210, v111
	v_add_f16_e32 v45, v46, v45
	v_add_f16_e32 v39, v41, v39
	v_add_f16_e64 v128, v157, v150
	v_add_f16_e64 v150, v159, v207
	v_add_f16_e32 v104, v108, v104
	v_sub_f16_e64 v108, v149, v168
	v_add_f16_e32 v46, v111, v113
	v_sub_f16_e64 v41, v220, v110
	v_add_f16_e32 v44, v45, v44
	v_add_f16_e32 v38, v39, v38
	v_add_f16_e64 v128, v150, v128
	v_add_f16_e64 v150, v162, v217
	v_add_f16_e32 v104, v108, v104
	v_add_f16_e64 v108, v143, v185
	v_add_f16_e64 v129, v129, v183
	;; [unrolled: 1-line block ×3, first 2 shown]
	v_add_f16_e32 v39, v41, v46
	v_add_f16_e64 v41, v92, v179
	v_add_f16_e32 v43, v44, v43
	v_add_f16_e32 v37, v38, v37
	v_mul_f16_e64 v175, 0xb5ac, v158
	v_add_f16_e32 v105, v109, v105
	v_sub_f16_e64 v109, v186, v151
	v_add_f16_e64 v128, v150, v128
	v_add_f16_e64 v149, v166, v226
	v_add_f16_e32 v108, v25, v108
	v_sub_f16_e64 v134, v184, v134
	v_add_f16_e64 v129, v25, v129
	v_sub_f16_e64 v123, v182, v123
	v_add_f16_e32 v118, v25, v118
	v_sub_f16_e64 v18, v178, v18
	v_add_f16_e32 v25, v25, v41
	v_add_f16_e32 v38, v43, v42
	v_add_f16_e64 v41, v93, v189
	v_add_f16_e32 v36, v37, v36
	v_add_f16_e32 v109, v12, v109
	v_add_f16_e64 v128, v149, v128
	v_add_f16_e64 v143, v171, v175
	;; [unrolled: 1-line block ×4, first 2 shown]
	v_add_f16_e32 v123, v12, v123
	v_add_f16_e32 v12, v12, v18
	v_sub_f16_e64 v18, v188, v19
	v_add_f16_e32 v19, v38, v23
	v_add_f16_e32 v23, v41, v25
	;; [unrolled: 1-line block ×3, first 2 shown]
	v_add_f16_e64 v128, v143, v128
	v_add_f16_e64 v108, v146, v108
	;; [unrolled: 1-line block ×4, first 2 shown]
	v_sub_f16_e64 v126, v192, v126
	v_add_f16_e64 v120, v120, v191
	v_add_f16_e64 v35, v95, v199
	v_add_f16_e32 v12, v18, v12
	v_add_f16_e32 v18, v19, v22
	;; [unrolled: 1-line block ×3, first 2 shown]
	v_sub_f16_e64 v142, v196, v153
	v_add_f16_e64 v108, v143, v108
	v_add_f16_e64 v143, v144, v215
	v_sub_f16_e64 v132, v194, v132
	v_add_f16_e64 v129, v131, v129
	v_add_f16_e64 v131, v133, v203
	v_add_f16_e32 v123, v126, v123
	v_sub_f16_e64 v125, v202, v125
	v_add_f16_e32 v118, v120, v118
	v_add_f16_e64 v119, v119, v201
	v_sub_f16_e64 v19, v198, v94
	v_add_f16_e32 v23, v35, v23
	v_add_f16_e64 v25, v97, v209
	v_add_f16_e32 v17, v18, v17
	v_add_f16_e32 v18, v22, v33
	v_mul_f16_e64 v231, 0x388b, v158
	v_add_f16_e64 v109, v142, v109
	v_sub_f16_e64 v142, v206, v155
	v_add_f16_e64 v108, v143, v108
	v_add_f16_e64 v143, v147, v225
	v_add_f16_e64 v132, v132, v134
	v_sub_f16_e64 v134, v204, v135
	v_add_f16_e64 v129, v131, v129
	v_add_f16_e64 v131, v136, v213
	v_add_f16_e32 v123, v125, v123
	v_sub_f16_e64 v124, v212, v124
	v_add_f16_e32 v118, v119, v118
	v_add_f16_e64 v119, v121, v211
	v_add_f16_e32 v12, v19, v12
	v_sub_f16_e64 v19, v208, v96
	v_add_f16_e32 v22, v25, v23
	v_add_f16_e32 v16, v17, v16
	v_add_f16_e64 v17, v106, v219
	v_add_f16_e32 v18, v18, v32
	v_mul_f16_e64 v172, 0xbbc4, v161
	v_mul_f16_e64 v227, 0xbbc4, v158
	;; [unrolled: 1-line block ×6, first 2 shown]
	v_add_f16_e64 v109, v142, v109
	v_sub_f16_e64 v142, v216, v154
	v_add_f16_e64 v108, v143, v108
	v_add_f16_e64 v133, v152, v231
	;; [unrolled: 1-line block ×3, first 2 shown]
	v_sub_f16_e64 v134, v214, v138
	v_add_f16_e64 v129, v131, v129
	v_add_f16_e64 v131, v137, v223
	v_add_f16_e32 v120, v124, v123
	v_sub_f16_e64 v123, v222, v127
	v_add_f16_e32 v118, v119, v118
	v_add_f16_e64 v119, v122, v221
	v_add_f16_e32 v12, v19, v12
	v_sub_f16_e64 v19, v218, v98
	v_add_f16_e32 v14, v16, v14
	v_add_f16_e32 v16, v17, v22
	;; [unrolled: 1-line block ×3, first 2 shown]
	v_mul_f16_e64 v230, 0x388b, v161
	v_mul_f16_e64 v145, 0xb5ac, v161
	v_add_f16_e64 v109, v142, v109
	v_sub_f16_e64 v142, v173, v156
	v_add_f16_e64 v108, v133, v108
	v_add_f16_e64 v132, v134, v132
	v_sub_f16_e64 v133, v224, v140
	v_add_f16_e64 v129, v131, v129
	v_add_f16_e64 v126, v139, v174
	v_add_f16_e32 v120, v123, v120
	v_add_f16_e32 v116, v119, v118
	v_add_f16_e64 v115, v115, v229
	v_sub_f16_e64 v110, v130, v114
	v_sub_f16_e64 v44, v228, v112
	v_add_f16_e64 v18, v107, v227
	v_add_f16_e32 v12, v19, v12
	v_add_f16_e32 v14, v14, v15
	v_mul_u32_u24_e32 v15, 26, v76
	v_add_f16_e32 v17, v17, v26
	v_sub_f16_e64 v19, v172, v99
	v_mul_f16_e64 v161, 0x2fb7, v161
	v_add_f16_e64 v109, v142, v109
	v_sub_f16_e64 v142, v145, v164
	v_add_f16_e64 v132, v133, v132
	v_sub_f16_e64 v133, v230, v141
	v_add_f16_e64 v117, v126, v129
	v_add_f16_e32 v45, v115, v116
	v_add_f16_e32 v16, v18, v16
	;; [unrolled: 1-line block ×3, first 2 shown]
	v_or_b32_e32 v14, v15, v75
	v_add_f16_e32 v15, v17, v27
	v_add_f16_e32 v12, v19, v12
	;; [unrolled: 1-line block ×4, first 2 shown]
	v_sub_f16_e64 v149, v161, v170
	v_lshlrev_b32_e32 v14, 2, v14
	v_pack_b32_f16 v13, v13, v15
	v_pack_b32_f16 v12, v12, v16
	;; [unrolled: 1-line block ×4, first 2 shown]
	v_add_f16_e64 v17, v133, v132
	v_add_f16_e64 v18, v142, v109
	;; [unrolled: 1-line block ×3, first 2 shown]
	ds_store_2addr_b32 v14, v13, v12 offset1:2
	ds_store_2addr_b32 v14, v15, v16 offset0:4 offset1:6
	v_perm_b32 v16, v21, v20, 0x5040100
	v_pack_b32_f16 v12, v17, v108
	v_pack_b32_f16 v13, v18, v128
	;; [unrolled: 1-line block ×3, first 2 shown]
	v_perm_b32 v17, v103, v51, 0x5040100
	v_perm_b32 v18, v102, v50, 0x5040100
	;; [unrolled: 1-line block ×5, first 2 shown]
	ds_store_2addr_b32 v14, v12, v13 offset0:8 offset1:10
	ds_store_2addr_b32 v14, v15, v16 offset0:12 offset1:14
	;; [unrolled: 1-line block ×4, first 2 shown]
	ds_store_b32 v14, v23 offset:96
.LBB0_11:
	s_wait_alu 0xfffe
	s_or_b32 exec_lo, exec_lo, s1
	global_wb scope:SCOPE_SE
	s_wait_dscnt 0x0
	s_barrier_signal -1
	s_barrier_wait -1
	global_inv scope:SCOPE_SE
	ds_load_b32 v22, v53
	ds_load_b32 v36, v53 offset:1144
	ds_load_b32 v35, v53 offset:2288
	;; [unrolled: 1-line block ×6, first 2 shown]
	v_cmp_gt_u16_e64 s1, 0x68, v67
                                        ; implicit-def: $vgpr37
                                        ; implicit-def: $vgpr38
	s_delay_alu instid0(VALU_DEP_1)
	s_and_saveexec_b32 s10, s1
	s_cbranch_execz .LBB0_13
; %bb.12:
	ds_load_b32 v20, v53 offset:728
	ds_load_b32 v51, v53 offset:1872
	ds_load_b32 v50, v53 offset:3016
	ds_load_b32 v49, v53 offset:4160
	ds_load_b32 v48, v53 offset:5304
	ds_load_b32 v47, v53 offset:6448
	ds_load_b32 v37, v53 offset:7592
	s_wait_dscnt 0x6
	v_lshrrev_b32_e32 v21, 16, v20
	s_wait_dscnt 0x5
	v_lshrrev_b32_e32 v103, 16, v51
	;; [unrolled: 2-line block ×7, first 2 shown]
.LBB0_13:
	s_wait_alu 0xfffe
	s_or_b32 exec_lo, exec_lo, s10
	v_and_b32_e32 v13, 0xffff, v24
	v_and_b32_e32 v12, 0xff, v67
	s_wait_dscnt 0x5
	v_lshrrev_b32_e32 v44, 16, v36
	s_wait_dscnt 0x4
	v_lshrrev_b32_e32 v45, 16, v35
	;; [unrolled: 2-line block ×3, first 2 shown]
	v_mul_u32_u24_e32 v13, 0x4ec5, v13
	v_mul_lo_u16 v12, 0x4f, v12
	s_wait_dscnt 0x0
	v_lshrrev_b32_e32 v106, 16, v23
	v_lshrrev_b32_e32 v46, 16, v27
	;; [unrolled: 1-line block ×4, first 2 shown]
	v_lshrrev_b16 v39, 11, v12
	v_lshrrev_b32_e32 v43, 16, v22
	s_delay_alu instid0(VALU_DEP_3) | instskip(NEXT) | instid1(VALU_DEP_3)
	v_mul_lo_u16 v13, v41, 26
	v_mul_lo_u16 v12, v39, 26
	v_and_b32_e32 v39, 0xffff, v39
	s_delay_alu instid0(VALU_DEP_3) | instskip(NEXT) | instid1(VALU_DEP_3)
	v_sub_nc_u16 v24, v24, v13
	v_sub_nc_u16 v12, v67, v12
	s_delay_alu instid0(VALU_DEP_3) | instskip(NEXT) | instid1(VALU_DEP_3)
	v_mul_u32_u24_e32 v39, 0xb6, v39
	v_mul_lo_u16 v14, v24, 24
	s_delay_alu instid0(VALU_DEP_3) | instskip(SKIP_1) | instid1(VALU_DEP_3)
	v_and_b32_e32 v42, 0xff, v12
	v_mad_u16 v92, 0xb6, v41, v24
	v_and_b32_e32 v14, 0xffff, v14
	s_delay_alu instid0(VALU_DEP_3) | instskip(SKIP_1) | instid1(VALU_DEP_3)
	v_mad_co_u64_u32 v[12:13], null, v42, 24, s[2:3]
	v_add_lshl_u32 v99, v39, v42, 2
	v_add_co_u32 v31, s10, s2, v14
	s_wait_alu 0xf1ff
	v_add_co_ci_u32_e64 v32, null, s3, 0, s10
	s_clause 0x3
	global_load_b128 v[16:19], v[12:13], off offset:96
	global_load_b64 v[33:34], v[12:13], off offset:112
	global_load_b128 v[12:15], v[31:32], off offset:96
	global_load_b64 v[31:32], v[31:32], off offset:112
	global_wb scope:SCOPE_SE
	s_wait_loadcnt 0x0
	s_barrier_signal -1
	s_barrier_wait -1
	global_inv scope:SCOPE_SE
	v_lshrrev_b32_e32 v115, 16, v16
	v_lshrrev_b32_e32 v114, 16, v17
	;; [unrolled: 1-line block ×12, first 2 shown]
	v_mul_f16_e32 v24, v44, v115
	v_mul_f16_e32 v39, v36, v115
	;; [unrolled: 1-line block ×18, first 2 shown]
	v_mul_f16_e64 v129, v52, v96
	v_mul_f16_e64 v130, v47, v96
	;; [unrolled: 1-line block ×4, first 2 shown]
	v_fma_f16 v24, v36, v16, -v24
	v_fmac_f16_e32 v39, v44, v16
	v_fma_f16 v35, v35, v17, -v41
	v_fmac_f16_e32 v42, v45, v17
	;; [unrolled: 2-line block ×4, first 2 shown]
	v_mul_f16_e32 v126, v49, v93
	v_mul_f16_e64 v128, v48, v94
	v_fma_f16 v27, v27, v18, -v107
	v_fmac_f16_e32 v108, v46, v18
	v_fma_f16 v26, v26, v19, -v109
	v_fmac_f16_e32 v116, v104, v19
	v_fma_f16 v36, v51, v12, -v121
	v_fmac_f16_e32 v122, v103, v12
	v_fma_f16 v41, v50, v13, -v123
	v_fmac_f16_e32 v124, v102, v13
	v_fma_f16 v44, v49, v14, -v125
	v_fma_f16 v45, v48, v15, -v127
	;; [unrolled: 1-line block ×3, first 2 shown]
	v_fmac_f16_e64 v130, v52, v31
	v_fma_f16 v37, v37, v32, -v131
	v_fmac_f16_e64 v132, v38, v32
	v_add_f16_e32 v38, v24, v23
	v_add_f16_e32 v47, v39, v120
	v_sub_f16_e32 v23, v24, v23
	v_sub_f16_e32 v24, v39, v120
	v_add_f16_e32 v39, v35, v25
	v_add_f16_e32 v48, v42, v118
	v_fmac_f16_e32 v126, v101, v14
	v_fmac_f16_e64 v128, v100, v15
	v_sub_f16_e32 v25, v35, v25
	v_sub_f16_e32 v35, v42, v118
	v_add_f16_e32 v42, v27, v26
	v_add_f16_e32 v49, v108, v116
	v_sub_f16_e32 v26, v26, v27
	v_sub_f16_e32 v27, v116, v108
	v_add_f16_e32 v50, v36, v37
	v_add_f16_e64 v51, v122, v132
	v_add_f16_e32 v52, v41, v46
	v_add_f16_e64 v100, v124, v130
	v_sub_f16_e32 v41, v41, v46
	v_add_f16_e32 v101, v44, v45
	v_sub_f16_e32 v44, v45, v44
	v_add_f16_e32 v103, v39, v38
	v_add_f16_e32 v104, v48, v47
	v_sub_f16_e32 v36, v36, v37
	v_sub_f16_e64 v37, v122, v132
	v_sub_f16_e64 v46, v124, v130
	v_add_f16_e64 v102, v126, v128
	v_sub_f16_e64 v45, v128, v126
	v_sub_f16_e32 v105, v39, v38
	v_sub_f16_e32 v106, v48, v47
	;; [unrolled: 1-line block ×6, first 2 shown]
	v_add_f16_e32 v107, v26, v25
	v_add_f16_e32 v108, v27, v35
	v_sub_f16_e32 v109, v26, v25
	v_sub_f16_e32 v116, v27, v35
	;; [unrolled: 1-line block ×3, first 2 shown]
	v_add_f16_e32 v117, v52, v50
	v_add_f16_e32 v118, v100, v51
	v_add_f16_e32 v121, v44, v41
	v_sub_f16_e32 v123, v44, v41
	v_add_f16_e32 v42, v42, v103
	v_add_f16_e32 v49, v49, v104
	v_sub_f16_e32 v35, v35, v24
	v_sub_f16_e32 v26, v23, v26
	v_sub_f16_e32 v27, v24, v27
	v_sub_f16_e32 v119, v52, v50
	v_sub_f16_e32 v120, v100, v51
	v_sub_f16_e32 v50, v50, v101
	v_sub_f16_e32 v51, v51, v102
	v_sub_f16_e32 v52, v101, v52
	v_sub_f16_e32 v100, v102, v100
	v_add_f16_e32 v122, v45, v46
	v_sub_f16_e32 v124, v45, v46
	v_sub_f16_e32 v44, v36, v44
	;; [unrolled: 1-line block ×4, first 2 shown]
	v_add_f16_e32 v103, v107, v23
	v_add_f16_e32 v104, v108, v24
	v_mul_f16_e32 v23, 0x3a52, v38
	v_mul_f16_e32 v24, 0x3a52, v47
	;; [unrolled: 1-line block ×5, first 2 shown]
	v_add_f16_e32 v101, v101, v117
	v_add_f16_e32 v102, v102, v118
	;; [unrolled: 1-line block ×3, first 2 shown]
	v_mul_f16_e32 v121, 0xb846, v123
	v_add_f16_e32 v125, v22, v42
	v_add_f16_e32 v43, v43, v49
	v_mul_f16_e32 v38, 0x2b26, v39
	v_mul_f16_e32 v47, 0x2b26, v48
	;; [unrolled: 1-line block ×3, first 2 shown]
	v_sub_f16_e32 v45, v37, v45
	v_add_f16_e32 v37, v122, v37
	v_mul_f16_e32 v50, 0x3a52, v50
	v_mul_f16_e32 v51, 0x3a52, v51
	;; [unrolled: 1-line block ×7, first 2 shown]
	v_fmamk_f16 v39, v39, 0x2b26, v23
	v_fmamk_f16 v48, v48, 0x2b26, v24
	;; [unrolled: 1-line block ×4, first 2 shown]
	v_fma_f16 v109, v26, 0xb574, -v109
	v_add_f16_e32 v20, v20, v101
	v_add_f16_e32 v21, v21, v102
	v_fma_f16 v26, v41, 0x3b00, -v121
	v_fmamk_f16 v41, v42, 0xbcab, v125
	v_fmamk_f16 v42, v49, 0xbcab, v43
	v_fma_f16 v38, v105, 0x39e0, -v38
	v_fma_f16 v47, v106, 0x39e0, -v47
	;; [unrolled: 1-line block ×7, first 2 shown]
	v_fmamk_f16 v35, v52, 0x2b26, v50
	v_fmamk_f16 v52, v100, 0x2b26, v51
	v_fma_f16 v100, v119, 0x39e0, -v117
	v_fma_f16 v117, v120, 0x39e0, -v118
	v_fma_f16 v50, v119, 0xb9e0, -v50
	v_fma_f16 v51, v120, 0xb9e0, -v51
	v_fmamk_f16 v22, v44, 0x3574, v121
	v_fmamk_f16 v23, v45, 0x3574, v122
	v_fma_f16 v24, v46, 0x3b00, -v122
	v_fma_f16 v27, v44, 0xb574, -v123
	;; [unrolled: 1-line block ×3, first 2 shown]
	v_fmac_f16_e32 v126, 0x370e, v103
	v_fmac_f16_e32 v127, 0x370e, v104
	v_pack_b32_f16 v45, v125, v43
	v_fmamk_f16 v43, v101, 0xbcab, v20
	v_fmamk_f16 v44, v102, 0xbcab, v21
	v_add_f16_e32 v46, v39, v41
	v_add_f16_e32 v48, v48, v42
	v_fmac_f16_e32 v107, 0x370e, v103
	v_fmac_f16_e32 v108, 0x370e, v104
	;; [unrolled: 1-line block ×4, first 2 shown]
	v_add_f16_e32 v49, v38, v41
	v_add_f16_e32 v47, v47, v42
	;; [unrolled: 1-line block ×4, first 2 shown]
	v_fmac_f16_e32 v22, 0x370e, v36
	v_fmac_f16_e32 v23, 0x370e, v37
	;; [unrolled: 1-line block ×6, first 2 shown]
	v_add_f16_e32 v35, v35, v43
	v_add_f16_e32 v37, v52, v44
	;; [unrolled: 1-line block ×7, first 2 shown]
	v_sub_f16_e32 v51, v48, v126
	v_add_f16_e32 v52, v116, v101
	v_sub_f16_e32 v100, v42, v109
	v_sub_f16_e32 v102, v49, v108
	v_add_f16_e32 v103, v107, v47
	v_add_f16_e32 v49, v108, v49
	v_sub_f16_e32 v47, v47, v107
	v_sub_f16_e32 v101, v101, v116
	v_add_f16_e32 v42, v109, v42
	v_sub_f16_e32 v46, v46, v127
	v_add_f16_e32 v48, v126, v48
	v_add_f16_e32 v43, v24, v36
	v_sub_f16_e32 v44, v39, v26
	v_sub_f16_e32 v118, v38, v25
	v_add_f16_e32 v119, v27, v41
	v_sub_f16_e32 v116, v35, v23
	v_pack_b32_f16 v50, v50, v51
	v_add_f16_e32 v117, v22, v37
	v_pack_b32_f16 v51, v52, v100
	v_pack_b32_f16 v52, v102, v103
	;; [unrolled: 1-line block ×5, first 2 shown]
	ds_store_2addr_b32 v99, v45, v50 offset1:26
	ds_store_2addr_b32 v99, v51, v52 offset0:52 offset1:78
	ds_store_2addr_b32 v99, v47, v42 offset0:104 offset1:130
	ds_store_b32 v99, v46 offset:624
	s_and_saveexec_b32 s10, s1
	s_cbranch_execz .LBB0_15
; %bb.14:
	v_add_f16_e32 v26, v26, v39
	v_and_b32_e32 v39, 0xffff, v92
	v_sub_f16_e32 v22, v37, v22
	v_add_f16_e32 v23, v23, v35
	v_sub_f16_e32 v27, v41, v27
	v_add_f16_e32 v25, v25, v38
	v_sub_f16_e32 v24, v36, v24
	v_lshlrev_b32_e32 v35, 2, v39
	v_perm_b32 v20, v21, v20, 0x5040100
	v_pack_b32_f16 v21, v23, v22
	v_pack_b32_f16 v22, v25, v27
	;; [unrolled: 1-line block ×3, first 2 shown]
	v_perm_b32 v24, v44, v43, 0x5040100
	v_perm_b32 v25, v119, v118, 0x5040100
	;; [unrolled: 1-line block ×3, first 2 shown]
	ds_store_2addr_b32 v35, v20, v21 offset1:26
	ds_store_2addr_b32 v35, v22, v23 offset0:52 offset1:78
	ds_store_2addr_b32 v35, v24, v25 offset0:104 offset1:130
	ds_store_b32 v35, v26 offset:624
.LBB0_15:
	s_wait_alu 0xfffe
	s_or_b32 exec_lo, exec_lo, s10
	v_mad_co_u64_u32 v[35:36], null, v67, 40, s[2:3]
	global_wb scope:SCOPE_SE
	s_wait_dscnt 0x0
	s_barrier_signal -1
	s_barrier_wait -1
	global_inv scope:SCOPE_SE
	v_add_nc_u32_e32 v39, 0xb00, v53
	v_add_nc_u32_e32 v41, 0x500, v53
	s_clause 0x2
	global_load_b128 v[24:27], v[35:36], off offset:720
	global_load_b128 v[20:23], v[35:36], off offset:736
	global_load_b64 v[35:36], v[35:36], off offset:752
	ds_load_2addr_b32 v[37:38], v53 offset1:182
	v_add_nc_u32_e32 v42, 0x1000, v53
	v_add_nc_u32_e32 v45, 0x1600, v53
	ds_load_b32 v131, v53 offset:7280
	ds_load_2addr_b32 v[123:124], v41 offset0:44 offset1:226
	ds_load_2addr_b32 v[125:126], v39 offset0:24 offset1:206
	ds_load_2addr_b32 v[127:128], v42 offset0:68 offset1:250
	ds_load_2addr_b32 v[129:130], v45 offset0:48 offset1:230
	s_add_nc_u64 s[2:3], s[16:17], 0x1f48
	s_wait_dscnt 0x5
	v_lshrrev_b32_e32 v49, 16, v38
	v_lshrrev_b32_e32 v52, 16, v37
	s_wait_dscnt 0x4
	v_lshrrev_b32_e32 v132, 16, v131
	s_wait_dscnt 0x3
	;; [unrolled: 2-line block ×4, first 2 shown]
	v_lshrrev_b32_e32 v137, 16, v129
	v_lshrrev_b32_e32 v138, 16, v130
	;; [unrolled: 1-line block ×6, first 2 shown]
	s_wait_loadcnt 0x2
	v_lshrrev_b32_e32 v109, 16, v24
	v_lshrrev_b32_e32 v108, 16, v25
	;; [unrolled: 1-line block ×3, first 2 shown]
	s_wait_loadcnt 0x1
	v_lshrrev_b32_e32 v103, 16, v22
	v_lshrrev_b32_e32 v102, 16, v23
	s_wait_loadcnt 0x0
	v_lshrrev_b32_e32 v100, 16, v35
	v_mul_f16_e64 v139, v49, v109
	v_mul_f16_e64 v140, v38, v109
	v_lshrrev_b32_e32 v105, 16, v20
	v_lshrrev_b32_e32 v101, 16, v36
	v_mul_f16_e64 v141, v51, v108
	v_mul_f16_e64 v142, v123, v108
	;; [unrolled: 1-line block ×6, first 2 shown]
	v_fma_f16 v139, v38, v24, -v139
	v_fmac_f16_e64 v140, v49, v24
	v_lshrrev_b32_e32 v106, 16, v27
	v_mul_f16_e64 v143, v121, v107
	v_mul_f16_e32 v122, v126, v105
	v_mul_f16_e64 v50, v128, v103
	v_mul_f16_e64 v48, v129, v102
	;; [unrolled: 1-line block ×4, first 2 shown]
	v_fma_f16 v123, v123, v25, -v141
	v_fmac_f16_e64 v142, v51, v25
	v_fmac_f16_e64 v144, v121, v26
	v_fma_f16 v121, v128, v22, -v149
	v_fma_f16 v51, v129, v23, -v150
	;; [unrolled: 1-line block ×3, first 2 shown]
	v_add_f16_e64 v128, v37, v139
	v_add_f16_e64 v129, v52, v140
	v_lshrrev_b32_e32 v104, 16, v21
	v_mul_f16_e64 v145, v133, v106
	v_mul_f16_e64 v146, v125, v106
	;; [unrolled: 1-line block ×4, first 2 shown]
	v_fma_f16 v124, v124, v26, -v143
	v_fmac_f16_e64 v122, v134, v20
	v_fmac_f16_e64 v50, v136, v22
	v_fma_f16 v38, v131, v36, -v152
	v_fmac_f16_e64 v46, v132, v36
	v_add_f16_e64 v134, v123, v49
	v_sub_f16_e64 v136, v123, v49
	v_add_f16_e64 v123, v128, v123
	v_add_f16_e64 v128, v129, v142
	v_mul_f16_e64 v148, v135, v104
	v_mul_f16_e32 v120, v127, v104
	v_fma_f16 v125, v125, v27, -v145
	v_fmac_f16_e64 v146, v133, v27
	v_fmac_f16_e64 v47, v138, v35
	v_add_f16_e64 v131, v140, v46
	v_sub_f16_e64 v132, v139, v38
	v_sub_f16_e64 v133, v140, v46
	v_add_f16_e64 v138, v124, v51
	v_sub_f16_e64 v140, v124, v51
	v_add_f16_e32 v123, v123, v124
	v_add_f16_e64 v124, v128, v144
	v_fma_f16 v126, v126, v20, -v147
	v_fma_f16 v127, v127, v21, -v148
	v_fmac_f16_e64 v120, v135, v21
	v_fmac_f16_e64 v48, v137, v23
	v_add_f16_e64 v130, v139, v38
	v_add_f16_e64 v135, v142, v47
	v_sub_f16_e64 v137, v142, v47
	v_mul_f16_e64 v129, 0xb853, v133
	v_mul_f16_e64 v142, 0xb853, v132
	v_add_f16_e32 v123, v123, v125
	v_add_f16_e64 v124, v124, v146
	v_sub_f16_e64 v141, v144, v48
	v_sub_f16_e64 v147, v125, v121
	;; [unrolled: 1-line block ×5, first 2 shown]
	v_mul_f16_e64 v153, 0xbb47, v133
	v_mul_f16_e64 v154, 0xbb47, v132
	;; [unrolled: 1-line block ×8, first 2 shown]
	v_add_f16_e64 v139, v144, v48
	v_add_f16_e64 v150, v122, v120
	v_mul_f16_e64 v159, 0xbb47, v137
	v_mul_f16_e64 v160, 0xbb47, v136
	v_fma_f16 v128, v130, 0x3abb, -v129
	v_fma_f16 v144, 0x3abb, v131, v142
	v_add_f16_e32 v123, v123, v126
	v_add_f16_e32 v122, v124, v122
	v_add_f16_e64 v143, v125, v121
	v_add_f16_e64 v145, v146, v50
	;; [unrolled: 1-line block ×3, first 2 shown]
	v_mul_f16_e64 v161, 0xba0c, v137
	v_mul_f16_e64 v162, 0xba0c, v136
	;; [unrolled: 1-line block ×38, first 2 shown]
	v_fmac_f16_e64 v129, 0x3abb, v130
	v_fma_f16 v142, v131, 0x3abb, -v142
	v_fma_f16 v191, v130, 0x36a6, -v153
	v_fma_f16 v192, 0x36a6, v131, v154
	v_fmac_f16_e64 v153, 0x36a6, v130
	v_fma_f16 v154, v131, 0x36a6, -v154
	v_fma_f16 v193, v130, 0xb08e, -v155
	v_fma_f16 v194, 0xb08e, v131, v156
	;; [unrolled: 4-line block ×3, first 2 shown]
	v_fmac_f16_e64 v157, 0xb93d, v130
	v_fma_f16 v197, v130, 0xbbad, -v133
	v_fma_f16 v198, 0xbbad, v131, v132
	v_fma_f16 v158, v131, 0xb93d, -v158
	v_fmac_f16_e64 v133, 0xbbad, v130
	v_fma_f16 v130, v131, 0xbbad, -v132
	v_fma_f16 v131, v134, 0x36a6, -v159
	v_fma_f16 v132, 0x36a6, v135, v160
	v_add_f16_e64 v125, v37, v128
	v_add_f16_e64 v128, v52, v144
	v_add_f16_e32 v123, v123, v127
	v_add_f16_e32 v120, v122, v120
	v_fmac_f16_e64 v159, 0x36a6, v134
	v_fma_f16 v160, v135, 0x36a6, -v160
	v_fma_f16 v199, v134, 0xb93d, -v161
	v_fma_f16 v200, 0xb93d, v135, v162
	v_fmac_f16_e64 v161, 0xb93d, v134
	v_fma_f16 v162, v135, 0xb93d, -v162
	v_fma_f16 v201, v134, 0xbbad, -v163
	v_fma_f16 v202, 0xbbad, v135, v164
	;; [unrolled: 4-line block ×19, first 2 shown]
	v_fmac_f16_e64 v152, 0xb08e, v149
	v_fma_f16 v149, v150, 0xb08e, -v151
	v_add_f16_e64 v129, v37, v129
	v_add_f16_e64 v142, v52, v142
	v_add_f16_e64 v144, v37, v191
	v_add_f16_e64 v146, v52, v192
	v_add_f16_e64 v150, v37, v153
	v_add_f16_e64 v151, v52, v154
	v_add_f16_e64 v153, v37, v193
	v_add_f16_e64 v154, v52, v194
	v_add_f16_e64 v155, v37, v155
	v_add_f16_e64 v156, v52, v156
	v_add_f16_e64 v191, v37, v195
	v_add_f16_e64 v192, v52, v196
	v_add_f16_e64 v157, v37, v157
	v_add_f16_e64 v193, v37, v197
	v_add_f16_e64 v194, v52, v198
	v_add_f16_e64 v158, v52, v158
	v_add_f16_e64 v37, v37, v133
	v_add_f16_e64 v52, v52, v130
	v_add_f16_e64 v124, v131, v125
	v_add_f16_e64 v125, v132, v128
	v_add_f16_e32 v121, v123, v121
	v_add_f16_e32 v50, v120, v50
	v_add_f16_e64 v126, v159, v129
	v_add_f16_e64 v128, v160, v142
	v_add_f16_e64 v129, v199, v144
	v_add_f16_e64 v130, v200, v146
	v_add_f16_e64 v131, v161, v150
	v_add_f16_e64 v132, v162, v151
	v_add_f16_e64 v133, v201, v153
	v_add_f16_e64 v142, v202, v154
	v_add_f16_e64 v144, v163, v155
	v_add_f16_e64 v146, v164, v156
	v_add_f16_e64 v150, v203, v191
	v_add_f16_e64 v151, v204, v192
	v_add_f16_e64 v153, v165, v157
	v_add_f16_e64 v155, v205, v193
	v_add_f16_e64 v156, v206, v194
	v_add_f16_e64 v154, v166, v158
	v_add_f16_e64 v37, v137, v37
	v_add_f16_e64 v52, v134, v52
	v_add_f16_e64 v122, v135, v124
	v_add_f16_e64 v124, v136, v125
	v_add_f16_e32 v51, v121, v51
	v_add_f16_e32 v48, v50, v48
	;; [unrolled: 22-line block ×4, first 2 shown]
	v_add_f16_e64 v37, v183, v123
	v_add_f16_e64 v120, v184, v124
	;; [unrolled: 1-line block ×18, first 2 shown]
	v_pack_b32_f16 v50, v50, v121
	v_pack_b32_f16 v38, v38, v46
	;; [unrolled: 1-line block ×11, first 2 shown]
	ds_store_2addr_b32 v53, v38, v50 offset1:182
	ds_store_2addr_b32 v41, v51, v47 offset0:44 offset1:226
	ds_store_2addr_b32 v39, v49, v52 offset0:24 offset1:206
	ds_store_2addr_b32 v42, v48, v46 offset0:68 offset1:250
	ds_store_2addr_b32 v45, v121, v122 offset0:48 offset1:230
	ds_store_b32 v53, v123 offset:7280
	global_wb scope:SCOPE_SE
	s_wait_dscnt 0x0
	s_barrier_signal -1
	s_barrier_wait -1
	global_inv scope:SCOPE_SE
	s_clause 0x9
	global_load_b32 v39, v[28:29], off offset:8008
	global_load_b32 v47, v53, s[2:3] offset:6916
	global_load_b32 v121, v53, s[2:3] offset:728
	;; [unrolled: 1-line block ×9, first 2 shown]
	ds_load_2addr_b32 v[45:46], v53 offset1:182
	ds_load_b32 v48, v53 offset:6916
	ds_load_b32 v129, v53 offset:2912
	v_add_nc_u32_e32 v38, 0xf00, v53
	v_add_nc_u32_e32 v130, 0x200, v53
	s_wait_dscnt 0x2
	v_lshrrev_b32_e32 v42, 16, v45
	s_wait_dscnt 0x1
	v_lshrrev_b32_e32 v50, 16, v48
	;; [unrolled: 2-line block ×3, first 2 shown]
	s_wait_loadcnt 0x8
	v_lshrrev_b32_e32 v51, 16, v47
	s_wait_loadcnt 0x7
	v_lshrrev_b32_e32 v133, 16, v121
	;; [unrolled: 2-line block ×4, first 2 shown]
	v_mul_f16_e64 v131, v50, v51
	v_mul_f16_e32 v51, v48, v51
	v_lshrrev_b32_e32 v49, 16, v39
	s_wait_loadcnt 0x3
	v_lshrrev_b32_e32 v139, 16, v125
	v_mul_f16_e64 v138, v132, v136
	v_fma_f16 v48, v48, v47, -v131
	v_fmac_f16_e32 v51, v50, v47
	v_mul_f16_e32 v52, v42, v49
	v_mul_f16_e32 v49, v45, v49
	v_lshrrev_b32_e32 v131, 16, v46
	v_mul_f16_e64 v136, v129, v136
	v_pack_b32_f16 v134, v48, v51
	v_fma_f16 v45, v45, v39, -v52
	v_fmac_f16_e32 v49, v42, v39
	v_add_nc_u32_e32 v42, 0x1500, v53
	v_mul_f16_e64 v137, v131, v133
	v_mul_f16_e64 v133, v46, v133
	v_fmac_f16_e64 v136, v132, v124
	v_pack_b32_f16 v45, v45, v49
	v_add_nc_u32_e32 v39, 0x800, v53
	v_fma_f16 v46, v46, v121, -v137
	v_fmac_f16_e64 v133, v131, v121
	v_fma_f16 v121, v129, v124, -v138
	ds_store_b32 v53, v45
	ds_load_2addr_b32 v[47:48], v38 offset0:41 offset1:223
	ds_load_2addr_b32 v[49:50], v41 offset0:44 offset1:226
	;; [unrolled: 1-line block ×3, first 2 shown]
	v_lshrrev_b32_e32 v45, 16, v122
	v_pack_b32_f16 v46, v46, v133
	v_pack_b32_f16 v121, v121, v136
	s_wait_loadcnt 0x2
	v_lshrrev_b32_e32 v124, 16, v126
	s_wait_loadcnt 0x0
	v_lshrrev_b32_e32 v131, 16, v128
	v_lshrrev_b32_e32 v129, 16, v127
	s_wait_dscnt 0x2
	v_lshrrev_b32_e32 v132, 16, v47
	v_mul_f16_e64 v133, v47, v45
	v_lshrrev_b32_e32 v136, 16, v48
	s_wait_dscnt 0x1
	v_lshrrev_b32_e32 v138, 16, v49
	s_wait_dscnt 0x0
	v_lshrrev_b32_e32 v141, 16, v51
	v_lshrrev_b32_e32 v145, 16, v52
	;; [unrolled: 1-line block ×3, first 2 shown]
	v_mul_f16_e64 v137, v48, v135
	v_mul_f16_e64 v45, v132, v45
	v_fmac_f16_e64 v133, v132, v122
	v_mul_f16_e64 v132, v136, v135
	v_mul_f16_e64 v140, v49, v139
	v_mul_f16_e64 v135, v138, v139
	v_mul_f16_e64 v142, v51, v124
	v_mul_f16_e64 v146, v52, v131
	v_mul_f16_e64 v124, v141, v124
	v_mul_f16_e64 v131, v145, v131
	v_mul_f16_e64 v144, v50, v129
	v_mul_f16_e64 v129, v143, v129
	v_fmac_f16_e64 v137, v136, v123
	v_fma_f16 v45, v47, v122, -v45
	v_fma_f16 v47, v48, v123, -v132
	v_fmac_f16_e64 v140, v138, v125
	v_fma_f16 v48, v49, v125, -v135
	v_fmac_f16_e64 v142, v141, v126
	v_fmac_f16_e64 v146, v145, v128
	v_fma_f16 v49, v51, v126, -v124
	v_fma_f16 v51, v52, v128, -v131
	v_fmac_f16_e64 v144, v143, v127
	v_fma_f16 v50, v50, v127, -v129
	v_pack_b32_f16 v45, v45, v133
	v_pack_b32_f16 v47, v47, v137
	;; [unrolled: 1-line block ×6, first 2 shown]
	ds_store_2addr_b32 v38, v45, v47 offset0:41 offset1:223
	ds_store_2addr_b32 v130, v46, v48 offset0:54 offset1:236
	;; [unrolled: 1-line block ×4, first 2 shown]
	ds_store_b32 v53, v134 offset:6916
	s_and_saveexec_b32 s10, vcc_lo
	s_cbranch_execz .LBB0_17
; %bb.16:
	s_wait_alu 0xfffe
	v_add_co_u32 v45, s2, s2, v53
	s_wait_alu 0xf1ff
	v_add_co_ci_u32_e64 v46, null, s3, 0, s2
	s_clause 0x1
	global_load_b32 v39, v[45:46], off offset:3640
	global_load_b32 v45, v[45:46], off offset:7644
	ds_load_b32 v46, v53 offset:3640
	ds_load_b32 v47, v53 offset:7644
	s_wait_dscnt 0x1
	v_lshrrev_b32_e32 v48, 16, v46
	s_wait_dscnt 0x0
	v_lshrrev_b32_e32 v50, 16, v47
	s_wait_loadcnt 0x1
	v_lshrrev_b32_e32 v49, 16, v39
	s_wait_loadcnt 0x0
	v_lshrrev_b32_e32 v51, 16, v45
	s_delay_alu instid0(VALU_DEP_2) | instskip(SKIP_1) | instid1(VALU_DEP_3)
	v_mul_f16_e32 v52, v48, v49
	v_mul_f16_e32 v49, v46, v49
	;; [unrolled: 1-line block ×4, first 2 shown]
	s_delay_alu instid0(VALU_DEP_4) | instskip(NEXT) | instid1(VALU_DEP_4)
	v_fma_f16 v46, v46, v39, -v52
	v_fmac_f16_e32 v49, v48, v39
	s_delay_alu instid0(VALU_DEP_4) | instskip(NEXT) | instid1(VALU_DEP_4)
	v_fma_f16 v39, v47, v45, -v121
	v_fmac_f16_e32 v51, v50, v45
	s_delay_alu instid0(VALU_DEP_3) | instskip(NEXT) | instid1(VALU_DEP_2)
	v_pack_b32_f16 v45, v46, v49
	v_pack_b32_f16 v39, v39, v51
	ds_store_b32 v53, v45 offset:3640
	ds_store_b32 v53, v39 offset:7644
.LBB0_17:
	s_wait_alu 0xfffe
	s_or_b32 exec_lo, exec_lo, s10
	global_wb scope:SCOPE_SE
	s_wait_dscnt 0x0
	s_barrier_signal -1
	s_barrier_wait -1
	global_inv scope:SCOPE_SE
	ds_load_2addr_b32 v[51:52], v53 offset1:182
	ds_load_2addr_b32 v[38:39], v38 offset0:41 offset1:223
	ds_load_2addr_b32 v[49:50], v41 offset0:44 offset1:226
	;; [unrolled: 1-line block ×3, first 2 shown]
	ds_load_b32 v125, v53 offset:2912
	ds_load_b32 v45, v53 offset:6916
	v_add_nc_u32_e32 v123, 0xb60, v40
	v_add_nc_u32_e32 v124, 0x1110, v40
	;; [unrolled: 1-line block ×3, first 2 shown]
	s_and_saveexec_b32 s2, vcc_lo
	s_cbranch_execz .LBB0_19
; %bb.18:
	ds_load_b32 v37, v53 offset:3640
	ds_load_b32 v43, v53 offset:7644
	s_wait_dscnt 0x1
	v_lshrrev_b32_e32 v120, 16, v37
	s_wait_dscnt 0x0
	v_lshrrev_b32_e32 v44, 16, v43
.LBB0_19:
	s_wait_alu 0xfffe
	s_or_b32 exec_lo, exec_lo, s2
	s_wait_dscnt 0x4
	v_pk_add_f16 v38, v51, v38 neg_lo:[0,1] neg_hi:[0,1]
	v_pk_add_f16 v48, v52, v39 neg_lo:[0,1] neg_hi:[0,1]
	v_sub_f16_e32 v40, v37, v43
	v_sub_f16_e32 v121, v120, v44
	s_wait_dscnt 0x2
	v_pk_add_f16 v46, v49, v41 neg_lo:[0,1] neg_hi:[0,1]
	v_pk_add_f16 v44, v50, v42 neg_lo:[0,1] neg_hi:[0,1]
	s_wait_dscnt 0x0
	v_pk_add_f16 v42, v125, v45 neg_lo:[0,1] neg_hi:[0,1]
	v_fma_f16 v39, v37, 2.0, -v40
	v_fma_f16 v120, v120, 2.0, -v121
	v_pk_fma_f16 v37, v51, 2.0, v38 op_sel_hi:[1,0,1] neg_lo:[0,0,1] neg_hi:[0,0,1]
	v_pk_fma_f16 v47, v52, 2.0, v48 op_sel_hi:[1,0,1] neg_lo:[0,0,1] neg_hi:[0,0,1]
	;; [unrolled: 1-line block ×5, first 2 shown]
	global_wb scope:SCOPE_SE
	s_barrier_signal -1
	s_barrier_wait -1
	global_inv scope:SCOPE_SE
	ds_store_b64 v78, v[37:38]
	ds_store_b64 v79, v[47:48]
	;; [unrolled: 1-line block ×5, first 2 shown]
	s_and_saveexec_b32 s2, vcc_lo
	s_cbranch_execz .LBB0_21
; %bb.20:
	v_perm_b32 v50, v121, v40, 0x5040100
	v_perm_b32 v49, v120, v39, 0x5040100
	ds_store_b64 v80, v[49:50]
.LBB0_21:
	s_wait_alu 0xfffe
	s_or_b32 exec_lo, exec_lo, s2
	v_lshrrev_b32_e32 v122, 16, v47
	v_lshrrev_b32_e32 v80, 16, v45
	;; [unrolled: 1-line block ×5, first 2 shown]
	global_wb scope:SCOPE_SE
	s_wait_dscnt 0x0
	s_barrier_signal -1
	s_barrier_wait -1
	global_inv scope:SCOPE_SE
	s_and_saveexec_b32 s2, s0
	s_cbranch_execz .LBB0_23
; %bb.22:
	v_add_nc_u32_e32 v39, 0x400, v53
	v_add_nc_u32_e32 v40, 0x900, v53
	;; [unrolled: 1-line block ×5, first 2 shown]
	ds_load_2addr_b32 v[37:38], v53 offset1:154
	ds_load_2addr_b32 v[47:48], v39 offset0:52 offset1:206
	ds_load_2addr_b32 v[45:46], v40 offset0:40 offset1:194
	;; [unrolled: 1-line block ×5, first 2 shown]
	ds_load_b32 v118, v53 offset:7392
	s_wait_dscnt 0x5
	v_lshrrev_b32_e32 v122, 16, v47
	s_wait_dscnt 0x4
	v_lshrrev_b32_e32 v80, 16, v45
	;; [unrolled: 2-line block ×4, first 2 shown]
	v_lshrrev_b32_e32 v49, 16, v37
	s_wait_dscnt 0x1
	v_lshrrev_b32_e32 v120, 16, v39
	v_lshrrev_b32_e32 v121, 16, v40
	s_wait_dscnt 0x0
	v_lshrrev_b32_e32 v119, 16, v118
.LBB0_23:
	s_wait_alu 0xfffe
	s_or_b32 exec_lo, exec_lo, s2
	v_lshrrev_b32_e32 v51, 16, v38
	v_mul_f16_e32 v123, v90, v38
	v_mul_f16_e32 v50, v91, v122
	;; [unrolled: 1-line block ×3, first 2 shown]
	v_lshrrev_b32_e32 v124, 16, v48
	v_mul_f16_e32 v52, v90, v51
	v_fma_f16 v51, v8, v51, -v123
	v_fmac_f16_e32 v50, v9, v47
	v_fma_f16 v47, v9, v122, -v91
	v_mul_f16_e32 v9, v89, v124
	v_fmac_f16_e32 v52, v8, v38
	v_mul_f16_e32 v38, v89, v48
	v_mul_f16_e32 v8, v88, v80
	v_lshrrev_b32_e32 v89, 16, v46
	v_mul_f16_e32 v88, v88, v45
	v_fmac_f16_e32 v9, v10, v48
	v_fma_f16 v48, v10, v124, -v38
	v_fmac_f16_e32 v8, v11, v45
	v_mul_f16_e32 v10, v87, v89
	v_fma_f16 v38, v11, v80, -v88
	v_mul_f16_e32 v45, v87, v46
	v_mul_f16_e32 v80, v86, v43
	;; [unrolled: 1-line block ×3, first 2 shown]
	v_fmac_f16_e32 v10, v4, v46
	v_lshrrev_b32_e32 v86, 16, v44
	v_fma_f16 v45, v4, v89, -v45
	v_fma_f16 v4, v5, v79, -v80
	v_lshrrev_b32_e32 v79, 16, v42
	v_fmac_f16_e32 v11, v5, v43
	v_mul_f16_e32 v46, v85, v86
	v_mul_f16_e32 v80, v85, v44
	;; [unrolled: 1-line block ×5, first 2 shown]
	v_fmac_f16_e32 v46, v6, v44
	v_fma_f16 v44, v6, v86, -v80
	v_fmac_f16_e32 v43, v7, v41
	v_fma_f16 v6, v7, v78, -v84
	v_fmac_f16_e32 v5, v0, v42
	v_mul_f16_e32 v78, v82, v42
	v_mul_f16_e32 v42, v81, v120
	;; [unrolled: 1-line block ×5, first 2 shown]
	v_fma_f16 v78, v0, v79, -v78
	v_fmac_f16_e32 v42, v1, v39
	v_mul_f16_e32 v39, v77, v121
	v_fma_f16 v41, v3, v119, -v41
	v_fmac_f16_e32 v7, v3, v118
	v_fma_f16 v3, v1, v120, -v80
	v_sub_f16_e64 v176, v9, v42
	v_fmac_f16_e32 v39, v2, v40
	v_mul_f16_e32 v40, v77, v40
	v_sub_f16_e32 v0, v51, v41
	v_add_f16_e32 v1, v41, v51
	v_add_f16_e64 v152, v7, v52
	v_sub_f16_e64 v153, v52, v7
	v_fma_f16 v80, v2, v121, -v40
	v_mul_f16_e32 v84, 0xb770, v0
	v_mul_f16_e32 v87, 0x3b15, v1
	;; [unrolled: 1-line block ×4, first 2 shown]
	v_mul_f16_e64 v129, 0xb5ac, v1
	v_mul_f16_e64 v139, 0xb9fd, v1
	;; [unrolled: 1-line block ×3, first 2 shown]
	v_sub_f16_e32 v1, v47, v80
	v_fma_f16 v77, v152, 0x3b15, -v84
	v_add_f16_e64 v167, v39, v50
	v_add_f16_e32 v119, v80, v47
	v_fma_f16 v90, 0xb3a8, v153, v150
	v_mul_f16_e32 v89, 0xba95, v1
	v_mul_f16_e32 v91, 0xba95, v0
	v_fma_f16 v79, 0xb770, v153, v87
	v_add_f16_e32 v2, v37, v77
	v_add_f16_e32 v125, v49, v90
	v_fma_f16 v120, v167, 0x388b, -v89
	v_sub_f16_e64 v168, v50, v39
	v_mul_f16_e32 v90, 0x388b, v119
	v_fma_f16 v81, v152, 0x388b, -v91
	v_add_f16_e32 v40, v49, v79
	v_mul_f16_e32 v126, 0xbb7b, v0
	v_fma_f16 v82, 0xbbf1, v153, v123
	v_mul_f16_e64 v134, 0xb94e, v0
	v_mul_f16_e32 v122, 0xbb7b, v1
	v_add_f16_e32 v2, v120, v2
	v_fma_f16 v120, 0xba95, v168, v90
	v_mul_f16_e64 v132, 0xbbc4, v119
	v_add_f16_e32 v79, v37, v81
	v_fma_f16 v83, v152, 0xb5ac, -v126
	v_fma_f16 v85, 0xbb7b, v153, v129
	v_add_f16_e32 v82, v49, v82
	v_fma_f16 v86, v152, 0xb9fd, -v134
	v_mul_f16_e64 v142, 0xb3a8, v0
	v_fma_f16 v127, v167, 0xb5ac, -v122
	v_add_f16_e32 v40, v120, v40
	v_fma_f16 v120, 0xb3a8, v168, v132
	v_mul_f16_e64 v133, 0x394e, v1
	v_mul_f16_e64 v140, 0xb9fd, v119
	v_fma_f16 v77, 0xba95, v153, v118
	v_mul_f16_e32 v121, 0xbbf1, v0
	v_add_f16_e32 v83, v37, v83
	v_add_f16_e32 v85, v49, v85
	v_add_f16_e32 v0, v37, v86
	v_fma_f16 v86, 0xb94e, v153, v139
	v_fma_f16 v88, v152, 0xbbc4, -v142
	v_mul_f16_e32 v124, 0xb5ac, v119
	v_add_f16_e32 v79, v127, v79
	v_add_f16_e32 v82, v120, v82
	v_mul_f16_e64 v151, 0x2fb7, v119
	v_fma_f16 v120, v167, 0xb9fd, -v133
	v_fma_f16 v127, 0x394e, v168, v140
	v_mul_f16_e64 v155, 0x3770, v1
	v_add_f16_e32 v77, v49, v77
	v_add_f16_e32 v86, v49, v86
	;; [unrolled: 1-line block ×3, first 2 shown]
	v_mul_f16_e64 v128, 0xb3a8, v1
	v_fma_f16 v130, 0xbb7b, v168, v124
	v_mul_f16_e64 v148, 0x3bf1, v1
	v_fma_f16 v1, 0x3bf1, v168, v151
	v_add_f16_e32 v83, v120, v83
	v_add_f16_e32 v85, v127, v85
	v_fma_f16 v120, v167, 0x3b15, -v155
	v_add_f16_e32 v127, v3, v48
	v_add_f16_e64 v77, v130, v77
	v_fma_f16 v130, v167, 0x2fb7, -v148
	v_add_f16_e32 v1, v1, v86
	v_mul_f16_e64 v166, 0x3b15, v119
	v_sub_f16_e32 v86, v48, v3
	v_add_f16_e32 v88, v120, v88
	v_mul_f16_e32 v120, 0x2fb7, v127
	v_fma_f16 v81, v152, 0x2fb7, -v121
	v_add_f16_e64 v0, v130, v0
	v_add_f16_e64 v175, v42, v9
	v_mul_f16_e32 v119, 0xbbf1, v86
	v_fma_f16 v135, 0x3770, v168, v166
	v_mul_f16_e64 v130, 0xb3a8, v86
	v_fma_f16 v137, 0xbbf1, v176, v120
	v_add_f16_e32 v81, v37, v81
	v_fma_f16 v131, v167, 0xbbc4, -v128
	v_fma_f16 v136, v175, 0x2fb7, -v119
	v_add_f16_e64 v135, v135, v125
	v_fma_f16 v125, v175, 0xbbc4, -v130
	v_add_f16_e64 v40, v137, v40
	v_mul_f16_e64 v137, 0x3b7b, v86
	v_mul_f16_e64 v143, 0xb5ac, v127
	v_add_f16_e64 v81, v131, v81
	v_add_f16_e64 v2, v136, v2
	v_add_f16_e32 v79, v125, v79
	v_fma_f16 v125, v175, 0xb5ac, -v137
	v_mul_f16_e64 v154, 0x3b15, v127
	v_fma_f16 v136, 0x3b7b, v176, v143
	v_mul_f16_e64 v131, 0xbbc4, v127
	v_mul_f16_e64 v160, 0xba95, v86
	v_add_f16_e32 v81, v125, v81
	v_fma_f16 v125, 0x3770, v176, v154
	v_add_f16_e64 v82, v136, v82
	v_mul_f16_e64 v165, 0x388b, v127
	v_sub_f16_e64 v136, v38, v78
	v_fma_f16 v138, 0xb3a8, v176, v131
	v_mul_f16_e64 v145, 0x3770, v86
	v_fma_f16 v141, v175, 0x388b, -v160
	v_add_f16_e32 v85, v125, v85
	v_mul_f16_e64 v170, 0xb94e, v86
	v_fma_f16 v86, 0xba95, v176, v165
	v_add_f16_e64 v182, v5, v8
	v_mul_f16_e64 v125, 0xbb7b, v136
	v_add_f16_e64 v77, v138, v77
	v_fma_f16 v138, v175, 0x3b15, -v145
	v_add_f16_e64 v0, v141, v0
	v_mul_f16_e64 v179, 0xb9fd, v127
	v_fma_f16 v127, v175, 0xb9fd, -v170
	v_add_f16_e32 v1, v86, v1
	v_add_f16_e32 v86, v78, v38
	v_fma_f16 v141, v182, 0xb5ac, -v125
	v_add_f16_e64 v83, v138, v83
	v_fma_f16 v138, 0xb94e, v176, v179
	v_add_f16_e32 v88, v127, v88
	v_sub_f16_e64 v184, v8, v5
	v_mul_f16_e32 v127, 0xb5ac, v86
	v_add_f16_e64 v2, v141, v2
	v_mul_f16_e64 v141, 0xb9fd, v86
	v_add_f16_e64 v146, v138, v135
	v_mul_f16_e64 v147, 0x3770, v136
	v_fma_f16 v138, 0xbb7b, v184, v127
	v_mul_f16_e64 v177, 0x3a95, v136
	v_fma_f16 v149, 0x394e, v184, v141
	v_mul_f16_e64 v157, 0x3b15, v86
	v_mul_f16_e64 v159, 0xbbf1, v136
	v_add_f16_e64 v40, v138, v40
	v_fma_f16 v138, v182, 0x3b15, -v147
	v_add_f16_e64 v77, v149, v77
	v_mul_f16_e64 v164, 0x2fb7, v86
	v_fma_f16 v149, v182, 0x388b, -v177
	v_mul_f16_e64 v135, 0x394e, v136
	v_fma_f16 v156, 0x3770, v184, v157
	v_add_f16_e64 v81, v138, v81
	v_mul_f16_e64 v172, 0x33a8, v136
	v_fma_f16 v138, v182, 0x2fb7, -v159
	v_mul_f16_e64 v174, 0xbbc4, v86
	v_fma_f16 v136, 0xbbf1, v184, v164
	v_mul_f16_e64 v186, 0x388b, v86
	v_add_f16_e64 v86, v149, v88
	v_sub_f16_e32 v88, v45, v6
	v_add_f16_e64 v149, v6, v45
	v_fma_f16 v144, v182, 0xb9fd, -v135
	v_add_f16_e64 v82, v156, v82
	v_add_f16_e64 v83, v138, v83
	v_fma_f16 v138, 0x33a8, v184, v174
	v_add_f16_e64 v85, v136, v85
	v_fma_f16 v158, 0x3a95, v184, v186
	v_add_f16_e64 v189, v43, v10
	v_sub_f16_e64 v190, v10, v43
	v_mul_f16_e64 v136, 0xb94e, v88
	v_mul_f16_e64 v156, 0x2fb7, v149
	v_add_f16_e64 v79, v144, v79
	v_fma_f16 v144, v182, 0xbbc4, -v172
	v_add_f16_e64 v1, v138, v1
	v_mul_f16_e64 v138, 0xb9fd, v149
	v_add_f16_e64 v158, v158, v146
	v_fma_f16 v146, v189, 0xb9fd, -v136
	v_fma_f16 v169, 0x3bf1, v190, v156
	v_mul_f16_e64 v161, 0xba95, v88
	v_add_f16_e64 v0, v144, v0
	v_mul_f16_e64 v144, 0x3bf1, v88
	v_fma_f16 v162, 0xb94e, v190, v138
	v_add_f16_e64 v2, v146, v2
	v_add_f16_e64 v77, v169, v77
	v_fma_f16 v146, v189, 0x388b, -v161
	v_mul_f16_e64 v169, 0x388b, v149
	v_mul_f16_e64 v171, 0x33a8, v88
	v_fma_f16 v163, v189, 0x2fb7, -v144
	v_add_f16_e64 v40, v162, v40
	v_mul_f16_e64 v173, 0xbbc4, v149
	v_mul_f16_e64 v181, 0x3770, v88
	v_add_f16_e64 v81, v146, v81
	v_fma_f16 v146, 0xba95, v190, v169
	v_fma_f16 v162, v189, 0xbbc4, -v171
	v_mul_f16_e64 v183, 0x3b15, v149
	v_sub_f16_e64 v192, v4, v44
	v_mul_f16_e64 v187, 0xbb7b, v88
	v_add_f16_e32 v88, v44, v4
	v_mul_f16_e64 v193, 0xb5ac, v149
	v_add_f16_e64 v79, v163, v79
	v_fma_f16 v163, 0x33a8, v190, v173
	v_add_f16_e64 v185, v146, v82
	v_add_f16_e64 v188, v162, v83
	v_fma_f16 v82, 0x3770, v190, v183
	v_add_f16_e64 v195, v46, v11
	v_mul_f16_e64 v146, 0xb3a8, v192
	v_sub_f16_e64 v194, v11, v46
	v_mul_f16_e64 v149, 0xbbc4, v88
	v_fma_f16 v162, 0xbb7b, v190, v193
	v_fma_f16 v178, v189, 0x3b15, -v181
	v_add_f16_e64 v85, v163, v85
	v_fma_f16 v163, v195, 0xbbc4, -v146
	v_add_f16_e64 v197, v82, v1
	v_fma_f16 v82, 0xb3a8, v194, v149
	v_add_f16_e64 v199, v162, v158
	v_mul_f16_e64 v158, 0x3770, v192
	v_add_f16_e64 v0, v178, v0
	v_fma_f16 v83, v189, 0xb5ac, -v187
	v_add_f16_e64 v1, v163, v2
	v_add_f16_e32 v2, v82, v40
	v_mul_f16_e64 v162, 0x3b15, v88
	v_mul_f16_e64 v163, 0xb94e, v192
	v_mul_f16_e64 v178, 0xb9fd, v88
	v_fma_f16 v40, v195, 0x3b15, -v158
	v_mul_f16_e64 v180, 0x3a95, v192
	v_add_f16_e64 v198, v83, v86
	v_fma_f16 v82, 0x3770, v194, v162
	v_fma_f16 v83, v195, 0xb9fd, -v163
	v_fma_f16 v86, 0xb94e, v194, v178
	v_add_f16_e32 v40, v40, v79
	v_fma_f16 v79, v195, 0x388b, -v180
	v_add_f16_e32 v82, v82, v77
	v_add_f16_e32 v77, v83, v81
	v_add_f16_e64 v83, v86, v185
	v_mul_f16_e64 v185, 0x388b, v88
	v_add_f16_e64 v79, v79, v188
	v_mul_f16_e64 v188, 0xbb7b, v192
	v_mul_f16_e64 v191, 0xb5ac, v88
	;; [unrolled: 1-line block ×4, first 2 shown]
	v_fma_f16 v81, 0x3a95, v194, v185
	v_fma_f16 v88, v195, 0xb5ac, -v188
	v_fma_f16 v200, 0xbb7b, v194, v191
	v_fma_f16 v201, v195, 0x2fb7, -v192
	v_fma_f16 v202, 0x3bf1, v194, v196
	v_add_f16_e32 v86, v81, v85
	v_add_f16_e32 v85, v88, v0
	v_add_f16_e64 v88, v200, v197
	v_add_f16_e64 v0, v201, v198
	;; [unrolled: 1-line block ×3, first 2 shown]
	global_wb scope:SCOPE_SE
	s_barrier_signal -1
	s_barrier_wait -1
	global_inv scope:SCOPE_SE
	s_and_saveexec_b32 s2, s0
	s_cbranch_execz .LBB0_25
; %bb.24:
	v_mul_f16_e64 v199, 0x388b, v152
	v_mul_f16_e64 v209, 0xb5ac, v167
	v_add_f16_e32 v52, v37, v52
	v_add_f16_e32 v51, v51, v49
	v_mul_f16_e64 v219, 0xbbc4, v175
	v_add_f16_e64 v91, v199, v91
	v_add_f16_e64 v122, v209, v122
	v_add_f16_e32 v50, v50, v52
	v_add_f16_e32 v47, v47, v51
	v_mul_f16_e64 v229, 0xb9fd, v182
	v_add_f16_e32 v91, v37, v91
	v_mul_f16_e64 v198, 0xb770, v153
	v_add_f16_e32 v9, v9, v50
	v_add_f16_e32 v47, v48, v47
	v_mul_f16_e64 v200, 0xba95, v153
	v_add_f16_e32 v91, v122, v91
	v_add_f16_e64 v122, v219, v130
	v_mul_f16_e64 v202, 0xbbf1, v153
	v_mul_f16_e64 v204, 0xbb7b, v153
	v_mul_f16_e64 v206, 0xb94e, v153
	v_mul_f16_e64 v153, 0xb3a8, v153
	v_mul_f16_e64 v239, 0x2fb7, v189
	v_add_f16_e32 v91, v122, v91
	v_add_f16_e64 v122, v229, v135
	v_add_f16_e32 v8, v8, v9
	v_add_f16_e32 v38, v38, v47
	v_mul_f16_e64 v208, 0xba95, v168
	v_mul_f16_e64 v210, 0xbb7b, v168
	;; [unrolled: 1-line block ×6, first 2 shown]
	v_sub_f16_e64 v150, v150, v153
	v_mul_f16_e64 v197, 0x3b15, v152
	v_mul_f16_e64 v201, 0x2fb7, v152
	;; [unrolled: 1-line block ×5, first 2 shown]
	v_add_f16_e32 v52, v122, v91
	v_add_f16_e64 v51, v239, v144
	v_add_f16_e32 v8, v10, v8
	v_add_f16_e32 v38, v45, v38
	v_mul_f16_e64 v218, 0xbbf1, v176
	v_mul_f16_e64 v220, 0xb3a8, v176
	;; [unrolled: 1-line block ×6, first 2 shown]
	v_add_f16_e64 v150, v49, v150
	v_sub_f16_e64 v166, v166, v168
	v_mul_f16_e64 v207, 0x388b, v167
	v_mul_f16_e64 v211, 0xbbc4, v167
	v_add_f16_e64 v142, v152, v142
	v_sub_f16_e64 v139, v139, v206
	v_add_f16_e64 v134, v205, v134
	v_sub_f16_e64 v129, v129, v204
	;; [unrolled: 2-line block ×4, first 2 shown]
	v_add_f16_e32 v48, v51, v52
	v_sub_f16_e64 v51, v87, v198
	v_add_f16_e64 v47, v197, v84
	v_add_f16_e32 v8, v11, v8
	v_add_f16_e32 v4, v4, v38
	v_mul_f16_e64 v228, 0xbb7b, v184
	v_mul_f16_e64 v230, 0x394e, v184
	;; [unrolled: 1-line block ×6, first 2 shown]
	v_add_f16_e64 v150, v166, v150
	v_sub_f16_e64 v166, v179, v176
	v_mul_f16_e64 v213, 0xb9fd, v167
	v_mul_f16_e64 v215, 0x2fb7, v167
	;; [unrolled: 1-line block ×4, first 2 shown]
	v_add_f16_e64 v142, v37, v142
	v_add_f16_e64 v139, v49, v139
	;; [unrolled: 1-line block ×4, first 2 shown]
	v_add_f16_e32 v126, v37, v126
	v_add_f16_e32 v123, v49, v123
	v_sub_f16_e64 v132, v132, v212
	v_add_f16_e32 v121, v37, v121
	v_add_f16_e64 v128, v211, v128
	v_add_f16_e32 v118, v49, v118
	v_sub_f16_e64 v124, v124, v210
	v_add_f16_e32 v49, v49, v51
	v_sub_f16_e64 v10, v90, v208
	v_add_f16_e32 v37, v37, v47
	v_add_f16_e64 v45, v207, v89
	v_add_f16_e32 v8, v46, v8
	v_add_f16_e32 v4, v44, v4
	v_mul_f16_e64 v167, 0x3b15, v167
	v_mul_f16_e64 v238, 0xb94e, v190
	;; [unrolled: 1-line block ×7, first 2 shown]
	v_add_f16_e64 v150, v166, v150
	v_sub_f16_e64 v166, v186, v184
	v_mul_f16_e64 v223, 0x3b15, v175
	v_mul_f16_e64 v225, 0x388b, v175
	v_mul_f16_e64 v227, 0xb5ac, v182
	v_mul_f16_e64 v231, 0x3b15, v182
	v_sub_f16_e64 v151, v151, v216
	v_add_f16_e64 v148, v215, v148
	v_sub_f16_e64 v140, v140, v214
	v_add_f16_e64 v133, v213, v133
	v_add_f16_e64 v123, v132, v123
	v_sub_f16_e64 v132, v143, v222
	v_add_f16_e64 v121, v128, v121
	v_add_f16_e64 v128, v221, v137
	v_add_f16_e32 v118, v124, v118
	v_sub_f16_e64 v124, v131, v220
	v_add_f16_e32 v10, v10, v49
	v_sub_f16_e64 v11, v120, v218
	v_add_f16_e32 v37, v45, v37
	v_add_f16_e64 v38, v217, v119
	v_add_f16_e32 v8, v43, v8
	v_add_f16_e32 v4, v6, v4
	v_mul_f16_e64 v175, 0xb9fd, v175
	v_add_f16_e64 v150, v166, v150
	v_sub_f16_e64 v152, v193, v190
	v_mul_f16_e64 v166, 0x3bf1, v194
	v_add_f16_e64 v155, v167, v155
	v_mul_f16_e64 v233, 0x2fb7, v182
	v_mul_f16_e64 v235, 0xbbc4, v182
	;; [unrolled: 1-line block ×4, first 2 shown]
	v_add_f16_e64 v139, v151, v139
	v_sub_f16_e64 v151, v165, v226
	v_add_f16_e64 v134, v148, v134
	v_add_f16_e64 v148, v225, v160
	v_add_f16_e64 v129, v140, v129
	v_sub_f16_e64 v140, v154, v224
	v_add_f16_e64 v126, v133, v126
	v_add_f16_e64 v133, v223, v145
	;; [unrolled: 4-line block ×3, first 2 shown]
	v_add_f16_e32 v118, v124, v118
	v_sub_f16_e64 v124, v141, v230
	v_add_f16_e32 v10, v11, v10
	v_sub_f16_e64 v11, v127, v228
	v_add_f16_e32 v37, v38, v37
	v_add_f16_e64 v6, v227, v125
	v_add_f16_e32 v5, v5, v8
	v_add_f16_e32 v4, v78, v4
	v_mul_f16_e64 v182, 0x388b, v182
	v_add_f16_e64 v150, v152, v150
	v_sub_f16_e64 v152, v196, v166
	v_add_f16_e64 v142, v155, v142
	v_add_f16_e64 v155, v175, v170
	v_mul_f16_e64 v243, 0xbbc4, v189
	v_mul_f16_e64 v153, 0x3b15, v189
	;; [unrolled: 1-line block ×8, first 2 shown]
	v_add_f16_e64 v139, v151, v139
	v_sub_f16_e64 v151, v174, v236
	v_add_f16_e64 v134, v148, v134
	v_add_f16_e64 v148, v235, v172
	v_add_f16_e64 v129, v140, v129
	v_sub_f16_e64 v140, v164, v234
	v_add_f16_e64 v126, v133, v126
	v_add_f16_e64 v133, v233, v159
	;; [unrolled: 4-line block ×3, first 2 shown]
	v_add_f16_e32 v118, v124, v118
	v_sub_f16_e64 v124, v156, v240
	v_add_f16_e32 v10, v11, v10
	v_sub_f16_e64 v8, v138, v238
	v_add_f16_e32 v6, v6, v37
	v_add_f16_e64 v11, v237, v136
	v_add_f16_e32 v5, v42, v5
	v_add_f16_e32 v3, v3, v4
	v_mul_f16_e64 v189, 0xb5ac, v189
	v_add_f16_e64 v150, v152, v150
	v_add_f16_e64 v142, v155, v142
	v_add_f16_e64 v152, v182, v177
	v_mul_f16_e64 v249, 0x388b, v195
	v_mul_f16_e64 v250, 0x3a95, v194
	;; [unrolled: 1-line block ×4, first 2 shown]
	v_add_f16_e64 v139, v151, v139
	v_sub_f16_e64 v151, v183, v245
	v_add_f16_e64 v134, v148, v134
	v_add_f16_e64 v148, v153, v181
	;; [unrolled: 1-line block ×3, first 2 shown]
	v_sub_f16_e64 v140, v173, v244
	v_add_f16_e64 v126, v133, v126
	v_add_f16_e64 v133, v243, v171
	;; [unrolled: 1-line block ×3, first 2 shown]
	v_sub_f16_e64 v132, v178, v179
	v_add_f16_e64 v121, v128, v121
	v_add_f16_e32 v118, v124, v118
	v_sub_f16_e64 v124, v162, v248
	v_add_f16_e64 v91, v176, v163
	v_add_f16_e64 v9, v247, v158
	v_add_f16_e32 v8, v8, v10
	v_sub_f16_e64 v4, v149, v246
	v_add_f16_e32 v6, v11, v6
	v_add_f16_e32 v5, v39, v5
	v_mul_u32_u24_e32 v10, 26, v76
	v_add_f16_e32 v3, v80, v3
	v_add_f16_e64 v11, v168, v146
	v_mul_f16_e64 v195, 0x2fb7, v195
	v_add_f16_e64 v142, v152, v142
	v_add_f16_e64 v152, v189, v187
	;; [unrolled: 1-line block ×3, first 2 shown]
	v_sub_f16_e64 v151, v191, v186
	v_add_f16_e64 v134, v148, v134
	v_add_f16_e64 v148, v184, v188
	;; [unrolled: 1-line block ×3, first 2 shown]
	v_sub_f16_e64 v140, v185, v250
	v_add_f16_e64 v126, v133, v126
	v_add_f16_e64 v133, v249, v180
	;; [unrolled: 1-line block ×3, first 2 shown]
	v_add_f16_e32 v50, v124, v118
	v_add_f16_e32 v4, v4, v8
	v_add_f16_e32 v5, v7, v5
	v_or_b32_e32 v7, v10, v75
	v_add_f16_e32 v3, v41, v3
	v_add_f16_e32 v6, v11, v6
	v_add_f16_e32 v8, v9, v48
	v_add_f16_e32 v9, v91, v121
	v_add_f16_e64 v142, v152, v142
	v_add_f16_e64 v152, v195, v192
	;; [unrolled: 1-line block ×4, first 2 shown]
	v_lshlrev_b32_e32 v7, 2, v7
	v_pack_b32_f16 v3, v5, v3
	v_pack_b32_f16 v4, v6, v4
	;; [unrolled: 1-line block ×4, first 2 shown]
	v_add_f16_e64 v8, v133, v126
	v_add_f16_e64 v9, v148, v134
	;; [unrolled: 1-line block ×3, first 2 shown]
	ds_store_2addr_b32 v7, v3, v4 offset1:2
	ds_store_2addr_b32 v7, v5, v6 offset0:4 offset1:6
	v_perm_b32 v6, v81, v0, 0x5040100
	v_pack_b32_f16 v3, v8, v129
	v_pack_b32_f16 v4, v9, v139
	;; [unrolled: 1-line block ×3, first 2 shown]
	v_perm_b32 v8, v88, v85, 0x5040100
	v_perm_b32 v9, v86, v79, 0x5040100
	v_perm_b32 v10, v83, v77, 0x5040100
	v_perm_b32 v11, v82, v40, 0x5040100
	v_perm_b32 v37, v2, v1, 0x5040100
	ds_store_2addr_b32 v7, v3, v4 offset0:8 offset1:10
	ds_store_2addr_b32 v7, v5, v6 offset0:12 offset1:14
	;; [unrolled: 1-line block ×4, first 2 shown]
	ds_store_b32 v7, v37 offset:96
.LBB0_25:
	s_wait_alu 0xfffe
	s_or_b32 exec_lo, exec_lo, s2
	global_wb scope:SCOPE_SE
	s_wait_dscnt 0x0
	s_barrier_signal -1
	s_barrier_wait -1
	global_inv scope:SCOPE_SE
	ds_load_b32 v3, v53
	ds_load_b32 v9, v53 offset:1144
	ds_load_b32 v8, v53 offset:2288
	ds_load_b32 v7, v53 offset:3432
	ds_load_b32 v6, v53 offset:4576
	ds_load_b32 v4, v53 offset:5720
	ds_load_b32 v5, v53 offset:6864
	s_and_saveexec_b32 s0, s1
	s_cbranch_execz .LBB0_27
; %bb.26:
	ds_load_b32 v0, v53 offset:728
	ds_load_b32 v85, v53 offset:1872
	ds_load_b32 v79, v53 offset:3016
	ds_load_b32 v77, v53 offset:4160
	ds_load_b32 v40, v53 offset:5304
	ds_load_b32 v1, v53 offset:6448
	ds_load_b32 v116, v53 offset:7592
	s_wait_dscnt 0x6
	v_lshrrev_b32_e32 v81, 16, v0
	s_wait_dscnt 0x5
	v_lshrrev_b32_e32 v88, 16, v85
	;; [unrolled: 2-line block ×7, first 2 shown]
.LBB0_27:
	s_wait_alu 0xfffe
	s_or_b32 exec_lo, exec_lo, s0
	s_wait_dscnt 0x5
	v_lshrrev_b32_e32 v10, 16, v9
	s_wait_dscnt 0x4
	v_lshrrev_b32_e32 v37, 16, v8
	;; [unrolled: 2-line block ×3, first 2 shown]
	v_mul_f16_e32 v39, v115, v9
	s_wait_dscnt 0x2
	v_lshrrev_b32_e32 v42, 16, v6
	v_mul_f16_e32 v41, v115, v10
	s_wait_dscnt 0x1
	v_lshrrev_b32_e32 v43, 16, v4
	s_wait_dscnt 0x0
	v_lshrrev_b32_e32 v44, 16, v5
	v_fma_f16 v10, v16, v10, -v39
	v_mul_f16_e32 v39, v113, v38
	v_fmac_f16_e32 v41, v16, v9
	v_mul_f16_e32 v9, v114, v37
	v_mul_f16_e32 v16, v114, v8
	;; [unrolled: 1-line block ×4, first 2 shown]
	v_fmac_f16_e32 v39, v18, v7
	v_fmac_f16_e32 v9, v17, v8
	v_fma_f16 v8, v17, v37, -v16
	v_fma_f16 v7, v18, v38, -v45
	v_mul_f16_e32 v16, v112, v44
	v_mul_f16_e32 v17, v112, v5
	;; [unrolled: 1-line block ×4, first 2 shown]
	v_fmac_f16_e32 v46, v19, v6
	v_mul_f16_e32 v6, v111, v6
	v_fmac_f16_e32 v16, v34, v5
	v_fma_f16 v5, v34, v44, -v17
	v_fmac_f16_e32 v18, v33, v4
	v_fma_f16 v4, v33, v43, -v37
	v_fma_f16 v6, v19, v42, -v6
	v_add_f16_e32 v17, v41, v16
	v_add_f16_e32 v19, v10, v5
	v_sub_f16_e32 v5, v10, v5
	v_add_f16_e32 v10, v9, v18
	v_add_f16_e32 v33, v8, v4
	v_sub_f16_e32 v9, v9, v18
	v_sub_f16_e32 v4, v8, v4
	v_add_f16_e32 v8, v39, v46
	v_add_f16_e32 v18, v7, v6
	v_sub_f16_e32 v34, v46, v39
	;; [unrolled: 4-line block ×3, first 2 shown]
	v_lshrrev_b32_e32 v11, 16, v3
	v_sub_f16_e32 v38, v10, v17
	v_sub_f16_e32 v39, v33, v19
	;; [unrolled: 1-line block ×6, first 2 shown]
	v_add_f16_e32 v41, v34, v9
	v_add_f16_e32 v42, v6, v4
	v_sub_f16_e32 v43, v34, v9
	v_sub_f16_e32 v44, v6, v4
	v_add_f16_e32 v7, v8, v7
	v_add_f16_e32 v8, v18, v37
	v_sub_f16_e32 v9, v9, v16
	v_sub_f16_e32 v4, v4, v5
	;; [unrolled: 1-line block ×4, first 2 shown]
	v_add_f16_e32 v16, v41, v16
	v_add_f16_e32 v5, v42, v5
	;; [unrolled: 1-line block ×4, first 2 shown]
	v_mul_f16_e32 v17, 0x3a52, v17
	v_mul_f16_e32 v18, 0x3a52, v19
	;; [unrolled: 1-line block ×8, first 2 shown]
	v_fmamk_f16 v7, v7, 0xbcab, v3
	v_fmamk_f16 v8, v8, 0xbcab, v11
	;; [unrolled: 1-line block ×4, first 2 shown]
	v_fma_f16 v19, v38, 0x39e0, -v19
	v_fma_f16 v37, v39, 0x39e0, -v37
	;; [unrolled: 1-line block ×4, first 2 shown]
	v_fmamk_f16 v38, v34, 0xb574, v41
	v_fmamk_f16 v39, v6, 0xb574, v42
	v_fma_f16 v9, v9, 0xbb00, -v41
	v_fma_f16 v4, v4, 0xbb00, -v42
	;; [unrolled: 1-line block ×4, first 2 shown]
	v_add_f16_e32 v10, v10, v7
	v_add_f16_e32 v33, v33, v8
	v_fmac_f16_e32 v38, 0xb70e, v16
	v_fmac_f16_e32 v39, 0xb70e, v5
	v_add_f16_e32 v19, v19, v7
	v_add_f16_e32 v37, v37, v8
	;; [unrolled: 1-line block ×4, first 2 shown]
	v_fmac_f16_e32 v9, 0xb70e, v16
	v_fmac_f16_e32 v6, 0xb70e, v5
	;; [unrolled: 1-line block ×4, first 2 shown]
	v_add_f16_e32 v5, v39, v10
	v_sub_f16_e32 v16, v33, v38
	v_add_f16_e32 v17, v6, v7
	v_sub_f16_e32 v18, v8, v34
	v_sub_f16_e32 v41, v19, v4
	v_add_f16_e32 v42, v9, v37
	v_add_f16_e32 v4, v4, v19
	v_sub_f16_e32 v9, v37, v9
	v_sub_f16_e32 v6, v7, v6
	v_add_f16_e32 v7, v34, v8
	v_sub_f16_e32 v8, v10, v39
	v_add_f16_e32 v10, v38, v33
	v_pack_b32_f16 v3, v3, v11
	v_pack_b32_f16 v5, v5, v16
	;; [unrolled: 1-line block ×7, first 2 shown]
	global_wb scope:SCOPE_SE
	s_barrier_signal -1
	s_barrier_wait -1
	global_inv scope:SCOPE_SE
	ds_store_2addr_b32 v99, v3, v5 offset1:26
	ds_store_2addr_b32 v99, v11, v16 offset0:52 offset1:78
	ds_store_2addr_b32 v99, v4, v6 offset0:104 offset1:130
	ds_store_b32 v99, v7 offset:624
	s_and_saveexec_b32 s0, s1
	s_cbranch_execz .LBB0_29
; %bb.28:
	v_mul_f16_e32 v7, v96, v2
	v_mul_f16_e32 v8, v98, v117
	;; [unrolled: 1-line block ×5, first 2 shown]
	v_fmac_f16_e32 v7, v31, v1
	v_fmac_f16_e32 v8, v32, v116
	v_fma_f16 v11, v32, v117, -v11
	v_mul_f16_e32 v1, v96, v1
	v_mul_f16_e32 v32, v95, v79
	v_mul_f16_e32 v4, v94, v82
	v_mul_f16_e32 v5, v93, v83
	v_mul_f16_e32 v6, v95, v86
	v_fmac_f16_e32 v3, v12, v85
	v_fma_f16 v12, v12, v88, -v18
	v_mul_f16_e32 v18, v93, v77
	v_mul_f16_e32 v33, v94, v40
	v_fma_f16 v1, v31, v2, -v1
	v_fma_f16 v2, v13, v86, -v32
	v_fmac_f16_e32 v4, v15, v40
	v_fmac_f16_e32 v5, v14, v77
	;; [unrolled: 1-line block ×3, first 2 shown]
	v_add_f16_e32 v13, v11, v12
	v_fma_f16 v14, v14, v83, -v18
	v_fma_f16 v15, v15, v82, -v33
	v_add_f16_e32 v18, v1, v2
	v_sub_f16_e32 v10, v6, v7
	v_sub_f16_e32 v16, v3, v8
	v_add_f16_e32 v3, v8, v3
	v_add_f16_e32 v32, v15, v14
	;; [unrolled: 1-line block ×4, first 2 shown]
	v_sub_f16_e32 v9, v4, v5
	v_add_f16_e32 v4, v4, v5
	v_sub_f16_e32 v34, v13, v32
	v_add_f16_e32 v33, v32, v33
	v_sub_f16_e32 v7, v32, v18
	v_add_f16_e32 v32, v6, v3
	v_sub_f16_e32 v14, v15, v14
	v_sub_f16_e32 v1, v2, v1
	;; [unrolled: 1-line block ×6, first 2 shown]
	v_add_f16_e32 v9, v9, v10
	v_add_f16_e32 v32, v4, v32
	v_sub_f16_e32 v12, v14, v1
	v_sub_f16_e32 v10, v10, v16
	v_mul_f16_e32 v2, 0x3a52, v37
	v_sub_f16_e32 v4, v4, v6
	v_sub_f16_e32 v37, v11, v14
	v_add_f16_e32 v14, v14, v1
	v_sub_f16_e32 v1, v1, v11
	v_mul_f16_e32 v17, 0x3846, v17
	v_mul_f16_e32 v8, 0x3a52, v34
	v_add_f16_e32 v5, v81, v33
	v_mul_f16_e32 v34, 0x2b26, v7
	v_add_f16_e32 v0, v0, v32
	v_mul_f16_e32 v12, 0x3846, v12
	v_mul_f16_e32 v39, 0xbb00, v10
	v_sub_f16_e32 v13, v18, v13
	v_fmamk_f16 v15, v4, 0x2b26, v2
	v_mul_f16_e32 v4, 0x2b26, v4
	v_sub_f16_e32 v3, v6, v3
	v_add_f16_e32 v6, v14, v11
	v_mul_f16_e32 v14, 0xbb00, v1
	v_fmamk_f16 v31, v19, 0xb574, v17
	v_add_f16_e32 v9, v9, v16
	v_fmamk_f16 v7, v7, 0x2b26, v8
	v_fmamk_f16 v33, v33, 0xbcab, v5
	;; [unrolled: 1-line block ×4, first 2 shown]
	v_fma_f16 v11, v19, 0x3574, -v39
	v_fma_f16 v8, v13, 0xb9e0, -v8
	;; [unrolled: 1-line block ×8, first 2 shown]
	v_fmac_f16_e32 v31, 0xb70e, v9
	v_add_f16_e32 v7, v7, v33
	v_add_f16_e32 v15, v15, v32
	v_fmac_f16_e32 v16, 0xb70e, v6
	v_fmac_f16_e32 v11, 0xb70e, v9
	v_add_f16_e32 v8, v8, v33
	v_add_f16_e32 v4, v13, v33
	v_fmac_f16_e32 v10, 0xb70e, v9
	v_add_f16_e32 v2, v2, v32
	v_fmac_f16_e32 v14, 0xb70e, v6
	v_fmac_f16_e32 v1, 0xb70e, v6
	v_add_f16_e32 v3, v3, v32
	v_add_f16_e32 v38, v31, v7
	;; [unrolled: 1-line block ×3, first 2 shown]
	v_sub_f16_e32 v13, v4, v10
	v_add_f16_e32 v4, v10, v4
	v_sub_f16_e32 v8, v8, v11
	v_and_b32_e32 v10, 0xffff, v92
	v_sub_f16_e32 v7, v7, v31
	v_add_f16_e32 v11, v16, v15
	v_sub_f16_e32 v12, v2, v14
	v_add_f16_e32 v17, v1, v3
	v_add_f16_e32 v2, v14, v2
	v_sub_f16_e32 v1, v3, v1
	v_sub_f16_e32 v6, v15, v16
	v_lshlrev_b32_e32 v3, 2, v10
	v_pack_b32_f16 v0, v0, v5
	v_pack_b32_f16 v5, v11, v7
	;; [unrolled: 1-line block ×7, first 2 shown]
	ds_store_2addr_b32 v3, v0, v5 offset1:26
	ds_store_2addr_b32 v3, v2, v1 offset0:52 offset1:78
	ds_store_2addr_b32 v3, v4, v7 offset0:104 offset1:130
	ds_store_b32 v3, v6 offset:624
.LBB0_29:
	s_wait_alu 0xfffe
	s_or_b32 exec_lo, exec_lo, s0
	global_wb scope:SCOPE_SE
	s_wait_dscnt 0x0
	s_barrier_signal -1
	s_barrier_wait -1
	global_inv scope:SCOPE_SE
	v_add_nc_u32_e32 v0, 0x500, v53
	ds_load_2addr_b32 v[4:5], v53 offset1:182
	v_add_nc_u32_e32 v1, 0xb00, v53
	v_add_nc_u32_e32 v2, 0x1000, v53
	;; [unrolled: 1-line block ×3, first 2 shown]
	ds_load_2addr_b32 v[6:7], v0 offset0:44 offset1:226
	ds_load_b32 v14, v53 offset:7280
	ds_load_2addr_b32 v[8:9], v1 offset0:24 offset1:206
	ds_load_2addr_b32 v[10:11], v2 offset0:68 offset1:250
	;; [unrolled: 1-line block ×3, first 2 shown]
	s_mov_b32 s10, 0x27a3ee9c
	s_mov_b32 s11, 0x3f405e1d
	s_wait_dscnt 0x5
	v_lshrrev_b32_e32 v16, 16, v5
	v_mul_f16_e32 v18, v109, v5
	v_lshrrev_b32_e32 v15, 16, v4
	s_wait_dscnt 0x4
	v_lshrrev_b32_e32 v19, 16, v6
	s_wait_dscnt 0x2
	v_lshrrev_b32_e32 v32, 16, v8
	v_mul_f16_e32 v40, v109, v16
	v_fma_f16 v16, v24, v16, -v18
	v_mul_f16_e32 v18, v108, v6
	v_lshrrev_b32_e32 v31, 16, v7
	v_lshrrev_b32_e32 v33, 16, v9
	v_mul_f16_e32 v42, v108, v19
	v_fmac_f16_e32 v40, v24, v5
	v_fma_f16 v18, v25, v19, -v18
	v_mul_f16_e32 v19, v106, v32
	s_wait_dscnt 0x1
	v_lshrrev_b32_e32 v34, 16, v10
	v_mul_f16_e32 v41, v107, v7
	v_mul_f16_e32 v5, v107, v31
	v_fmac_f16_e32 v42, v25, v6
	v_mul_f16_e32 v6, v106, v8
	v_fmac_f16_e32 v19, v27, v8
	v_mul_f16_e32 v8, v105, v33
	v_add_f16_e32 v24, v4, v40
	v_fmac_f16_e32 v5, v26, v7
	v_fma_f16 v7, v26, v31, -v41
	v_mul_f16_e32 v25, v105, v9
	v_mul_f16_e32 v26, v104, v34
	v_fmac_f16_e32 v8, v20, v9
	v_add_f16_e32 v9, v15, v16
	v_add_f16_e32 v24, v24, v42
	v_lshrrev_b32_e32 v37, 16, v11
	v_fmac_f16_e32 v26, v21, v10
	v_mul_f16_e32 v10, v104, v10
	v_add_f16_e32 v9, v9, v18
	v_add_f16_e32 v24, v24, v5
	s_wait_dscnt 0x0
	v_lshrrev_b32_e32 v38, 16, v12
	v_fma_f16 v6, v27, v32, -v6
	v_fma_f16 v20, v20, v33, -v25
	v_mul_f16_e32 v25, v103, v37
	v_mul_f16_e32 v27, v103, v11
	v_fma_f16 v10, v21, v34, -v10
	v_add_f16_e32 v9, v9, v7
	v_add_f16_e32 v21, v24, v19
	v_lshrrev_b32_e32 v39, 16, v13
	v_fmac_f16_e32 v25, v22, v11
	v_fma_f16 v11, v22, v37, -v27
	v_mul_f16_e32 v22, v102, v38
	v_add_f16_e32 v9, v9, v6
	v_add_f16_e32 v21, v21, v8
	v_mul_f16_e32 v24, v102, v12
	v_lshrrev_b32_e32 v17, 16, v14
	v_mul_f16_e32 v27, v100, v39
	v_fmac_f16_e32 v22, v23, v12
	v_add_f16_e32 v9, v9, v20
	v_add_f16_e32 v12, v21, v26
	v_fma_f16 v21, v23, v38, -v24
	v_mul_f16_e32 v23, v101, v14
	v_fmac_f16_e32 v27, v35, v13
	v_add_f16_e32 v9, v9, v10
	v_add_f16_e32 v12, v12, v25
	v_mul_f16_e32 v13, v100, v13
	v_mul_f16_e32 v24, v101, v17
	v_fma_f16 v17, v36, v17, -v23
	v_add_f16_e32 v9, v9, v11
	v_add_f16_e32 v12, v12, v22
	v_fma_f16 v13, v35, v39, -v13
	v_fmac_f16_e32 v24, v36, v14
	v_sub_f16_e32 v14, v16, v17
	v_add_f16_e32 v9, v9, v21
	v_add_f16_e32 v12, v12, v27
	;; [unrolled: 1-line block ×4, first 2 shown]
	v_mul_f16_e32 v31, 0xb853, v14
	v_sub_f16_e32 v48, v18, v13
	v_add_f16_e32 v9, v9, v13
	v_sub_f16_e32 v32, v40, v24
	v_mul_f16_e32 v33, 0x3abb, v16
	v_fmamk_f16 v34, v23, 0x3abb, v31
	v_add_f16_e32 v12, v12, v24
	v_mul_f16_e32 v24, 0xbb47, v14
	v_mul_f16_e32 v36, 0x36a6, v16
	;; [unrolled: 1-line block ×8, first 2 shown]
	v_add_f16_e32 v50, v42, v27
	v_mul_f16_e32 v51, 0xbb47, v48
	v_add_f16_e32 v13, v18, v13
	v_add_f16_e32 v9, v9, v17
	v_fmamk_f16 v17, v32, 0x3853, v33
	v_add_f16_e32 v34, v4, v34
	v_fma_f16 v31, v23, 0x3abb, -v31
	v_fmac_f16_e32 v33, 0xb853, v32
	v_fmamk_f16 v35, v23, 0x36a6, v24
	v_fmamk_f16 v38, v32, 0x3b47, v36
	v_fma_f16 v24, v23, 0x36a6, -v24
	v_fmac_f16_e32 v36, 0xbb47, v32
	v_fmamk_f16 v39, v23, 0xb08e, v37
	v_fmamk_f16 v41, v32, 0x3beb, v40
	;; [unrolled: 4-line block ×4, first 2 shown]
	v_fma_f16 v14, v23, 0xbbad, -v14
	v_fmac_f16_e32 v16, 0xb482, v32
	v_sub_f16_e32 v18, v42, v27
	v_fmamk_f16 v23, v50, 0x36a6, v51
	v_mul_f16_e32 v27, 0x36a6, v13
	v_add_f16_e32 v17, v15, v17
	v_add_f16_e32 v31, v4, v31
	;; [unrolled: 1-line block ×20, first 2 shown]
	v_fmamk_f16 v16, v18, 0x3b47, v27
	v_mul_f16_e32 v23, 0xba0c, v48
	v_fma_f16 v34, v50, 0x36a6, -v51
	v_fmac_f16_e32 v27, 0xbb47, v18
	v_mul_f16_e32 v42, 0xb93d, v13
	v_add_f16_e32 v16, v16, v17
	v_fmamk_f16 v17, v50, 0xb93d, v23
	v_add_f16_e32 v31, v34, v31
	v_add_f16_e32 v27, v27, v33
	v_fmamk_f16 v33, v18, 0x3a0c, v42
	v_mul_f16_e32 v34, 0x3482, v48
	v_add_f16_e32 v17, v17, v35
	v_fma_f16 v23, v50, 0xb93d, -v23
	v_fmac_f16_e32 v42, 0xba0c, v18
	v_add_f16_e32 v33, v33, v38
	v_fmamk_f16 v35, v50, 0xbbad, v34
	v_mul_f16_e32 v38, 0xbbad, v13
	v_add_f16_e32 v23, v23, v24
	v_add_f16_e32 v24, v42, v36
	v_mul_f16_e32 v36, 0x3beb, v48
	v_add_f16_e32 v35, v35, v39
	v_fmamk_f16 v39, v18, 0xb482, v38
	v_fma_f16 v34, v50, 0xbbad, -v34
	v_fmac_f16_e32 v38, 0x3482, v18
	v_mul_f16_e32 v49, 0xb08e, v13
	v_fmamk_f16 v42, v50, 0xb08e, v36
	v_mul_f16_e32 v13, 0x3abb, v13
	v_add_f16_e32 v34, v34, v37
	v_add_f16_e32 v37, v38, v40
	v_fmamk_f16 v40, v18, 0xbbeb, v49
	v_fma_f16 v36, v50, 0xb08e, -v36
	v_fmac_f16_e32 v49, 0x3beb, v18
	v_add_f16_e32 v39, v39, v41
	v_add_f16_e32 v38, v42, v45
	v_mul_f16_e32 v41, 0x3853, v48
	v_fmamk_f16 v45, v18, 0xb853, v13
	v_add_f16_e32 v36, v36, v43
	v_add_f16_e32 v43, v49, v44
	v_sub_f16_e32 v44, v7, v21
	v_add_f16_e32 v7, v7, v21
	v_fmamk_f16 v42, v50, 0x3abb, v41
	v_add_f16_e32 v32, v45, v32
	v_add_f16_e32 v45, v5, v22
	v_mul_f16_e32 v21, 0xbbeb, v44
	v_fma_f16 v41, v50, 0x3abb, -v41
	v_fmac_f16_e32 v13, 0x3853, v18
	v_sub_f16_e32 v5, v5, v22
	v_mul_f16_e32 v18, 0xb08e, v7
	v_fmamk_f16 v22, v45, 0xb08e, v21
	v_add_f16_e32 v4, v41, v4
	v_add_f16_e32 v13, v13, v14
	v_mul_f16_e32 v14, 0x3482, v44
	v_fmamk_f16 v41, v5, 0x3beb, v18
	v_add_f16_e32 v15, v22, v15
	v_fma_f16 v21, v45, 0xb08e, -v21
	v_fmac_f16_e32 v18, 0xbbeb, v5
	v_fmamk_f16 v22, v45, 0xbbad, v14
	v_add_f16_e32 v16, v41, v16
	v_mul_f16_e32 v41, 0xbbad, v7
	v_add_f16_e32 v21, v21, v31
	v_add_f16_e32 v18, v18, v27
	;; [unrolled: 1-line block ×3, first 2 shown]
	v_mul_f16_e32 v22, 0x3b47, v44
	v_fmamk_f16 v27, v5, 0xb482, v41
	v_fma_f16 v14, v45, 0xbbad, -v14
	v_fmac_f16_e32 v41, 0x3482, v5
	v_mul_f16_e32 v31, 0x36a6, v7
	v_add_f16_e32 v40, v40, v46
	v_fmamk_f16 v46, v45, 0x36a6, v22
	v_add_f16_e32 v14, v14, v23
	v_add_f16_e32 v23, v41, v24
	v_fmamk_f16 v24, v5, 0xbb47, v31
	v_add_f16_e32 v27, v27, v33
	v_add_f16_e32 v33, v46, v35
	v_mul_f16_e32 v35, 0xb853, v44
	v_fma_f16 v22, v45, 0x36a6, -v22
	v_fmac_f16_e32 v31, 0x3b47, v5
	v_add_f16_e32 v24, v24, v39
	v_mul_f16_e32 v39, 0x3abb, v7
	v_fmamk_f16 v41, v45, 0x3abb, v35
	v_add_f16_e32 v22, v22, v34
	v_add_f16_e32 v31, v31, v37
	v_mul_f16_e32 v34, 0xba0c, v44
	v_fmamk_f16 v37, v5, 0x3853, v39
	v_add_f16_e32 v42, v42, v47
	v_add_f16_e32 v38, v41, v38
	v_fma_f16 v35, v45, 0x3abb, -v35
	v_fmac_f16_e32 v39, 0xb853, v5
	v_fmamk_f16 v41, v45, 0xb93d, v34
	v_add_f16_e32 v37, v37, v40
	v_mul_f16_e32 v7, 0xb93d, v7
	v_sub_f16_e32 v40, v6, v11
	v_add_f16_e32 v6, v6, v11
	v_add_f16_e32 v35, v35, v36
	;; [unrolled: 1-line block ×4, first 2 shown]
	v_fmamk_f16 v41, v5, 0x3a0c, v7
	v_fma_f16 v34, v45, 0xb93d, -v34
	v_add_f16_e32 v11, v19, v25
	v_mul_f16_e32 v42, 0xba0c, v40
	v_fmac_f16_e32 v7, 0xba0c, v5
	v_sub_f16_e32 v5, v19, v25
	v_mul_f16_e32 v19, 0xb93d, v6
	v_add_f16_e32 v25, v41, v32
	v_fmamk_f16 v32, v11, 0xb93d, v42
	v_add_f16_e32 v4, v34, v4
	v_add_f16_e32 v7, v7, v13
	v_fmamk_f16 v13, v5, 0x3a0c, v19
	v_mul_f16_e32 v34, 0x3beb, v40
	v_fmac_f16_e32 v19, 0xba0c, v5
	v_add_f16_e32 v15, v32, v15
	v_fma_f16 v32, v11, 0xb93d, -v42
	v_add_f16_e32 v13, v13, v16
	v_fmamk_f16 v16, v11, 0xb08e, v34
	v_mul_f16_e32 v41, 0xb08e, v6
	v_add_f16_e32 v18, v19, v18
	v_mul_f16_e32 v19, 0xb853, v40
	v_add_f16_e32 v21, v32, v21
	v_add_f16_e32 v16, v16, v17
	v_fmamk_f16 v17, v5, 0xbbeb, v41
	v_fma_f16 v32, v11, 0xb08e, -v34
	v_fmamk_f16 v34, v11, 0x3abb, v19
	v_mul_f16_e32 v42, 0x3abb, v6
	v_fma_f16 v19, v11, 0x3abb, -v19
	v_add_f16_e32 v17, v17, v27
	v_add_f16_e32 v14, v32, v14
	;; [unrolled: 1-line block ×3, first 2 shown]
	v_fmamk_f16 v32, v5, 0x3853, v42
	v_mul_f16_e32 v33, 0xb482, v40
	v_mul_f16_e32 v34, 0xbbad, v6
	v_add_f16_e32 v19, v19, v22
	v_mul_f16_e32 v40, 0x3b47, v40
	v_add_f16_e32 v24, v32, v24
	v_fmamk_f16 v32, v11, 0xbbad, v33
	v_fmamk_f16 v22, v5, 0x3482, v34
	v_fma_f16 v33, v11, 0xbbad, -v33
	v_fmac_f16_e32 v34, 0xb482, v5
	v_mul_f16_e32 v6, 0x36a6, v6
	v_add_f16_e32 v32, v32, v38
	v_add_f16_e32 v22, v22, v37
	v_fmamk_f16 v37, v11, 0x36a6, v40
	v_add_f16_e32 v33, v33, v35
	v_sub_f16_e32 v35, v20, v10
	v_add_f16_e32 v34, v34, v36
	v_add_f16_e32 v38, v8, v26
	;; [unrolled: 1-line block ×4, first 2 shown]
	v_mul_f16_e32 v39, 0xb482, v35
	v_fmac_f16_e32 v41, 0x3beb, v5
	v_fmac_f16_e32 v42, 0xb853, v5
	v_fmamk_f16 v37, v5, 0xbb47, v6
	v_fma_f16 v11, v11, 0x36a6, -v40
	v_fmac_f16_e32 v6, 0x3b47, v5
	v_sub_f16_e32 v5, v8, v26
	v_fmamk_f16 v8, v38, 0xbbad, v39
	v_mul_f16_e32 v20, 0xbbad, v10
	v_add_f16_e32 v4, v11, v4
	v_add_f16_e32 v6, v6, v7
	v_mul_f16_e32 v11, 0x3853, v35
	v_add_f16_e32 v7, v8, v15
	v_fmamk_f16 v8, v5, 0x3482, v20
	v_fma_f16 v15, v38, 0xbbad, -v39
	v_fmac_f16_e32 v20, 0xb482, v5
	v_mul_f16_e32 v26, 0x3abb, v10
	v_add_f16_e32 v23, v41, v23
	v_add_f16_e32 v8, v8, v13
	v_fmamk_f16 v13, v38, 0x3abb, v11
	v_add_f16_e32 v15, v15, v21
	v_add_f16_e32 v18, v20, v18
	v_fmamk_f16 v20, v5, 0xb853, v26
	v_mul_f16_e32 v21, 0xba0c, v35
	v_fma_f16 v11, v38, 0x3abb, -v11
	v_fmac_f16_e32 v26, 0x3853, v5
	v_add_f16_e32 v13, v13, v16
	v_add_f16_e32 v16, v20, v17
	v_fmamk_f16 v17, v38, 0xb93d, v21
	v_add_f16_e32 v11, v11, v14
	v_add_f16_e32 v14, v26, v23
	v_mul_f16_e32 v23, 0x3b47, v35
	v_mul_f16_e32 v20, 0xb93d, v10
	v_add_f16_e32 v17, v17, v27
	v_fma_f16 v21, v38, 0xb93d, -v21
	v_add_f16_e32 v31, v42, v31
	v_fmamk_f16 v27, v38, 0x36a6, v23
	v_add_f16_e32 v25, v37, v25
	v_fmamk_f16 v26, v5, 0x3a0c, v20
	v_fmac_f16_e32 v20, 0xba0c, v5
	v_mul_f16_e32 v37, 0x36a6, v10
	v_add_f16_e32 v19, v21, v19
	v_add_f16_e32 v21, v27, v32
	v_mul_f16_e32 v27, 0xbbeb, v35
	v_mul_f16_e32 v10, 0xb08e, v10
	v_add_f16_e32 v24, v26, v24
	v_add_f16_e32 v20, v20, v31
	v_fmamk_f16 v26, v5, 0xbb47, v37
	v_fmamk_f16 v31, v38, 0xb08e, v27
	;; [unrolled: 1-line block ×3, first 2 shown]
	v_fma_f16 v23, v38, 0x36a6, -v23
	v_fmac_f16_e32 v37, 0x3b47, v5
	v_fma_f16 v27, v38, 0xb08e, -v27
	v_fmac_f16_e32 v10, 0xbbeb, v5
	v_pack_b32_f16 v5, v12, v9
	v_pack_b32_f16 v7, v7, v8
	v_add_f16_e32 v22, v26, v22
	v_add_f16_e32 v8, v31, v36
	;; [unrolled: 1-line block ×7, first 2 shown]
	ds_store_2addr_b32 v53, v5, v7 offset1:182
	v_pack_b32_f16 v5, v13, v16
	v_pack_b32_f16 v7, v17, v24
	;; [unrolled: 1-line block ×9, first 2 shown]
	ds_store_2addr_b32 v0, v5, v7 offset0:44 offset1:226
	ds_store_2addr_b32 v1, v10, v8 offset0:24 offset1:206
	;; [unrolled: 1-line block ×4, first 2 shown]
	ds_store_b32 v53, v12 offset:7280
	global_wb scope:SCOPE_SE
	s_wait_dscnt 0x0
	s_barrier_signal -1
	s_barrier_wait -1
	global_inv scope:SCOPE_SE
	ds_load_2addr_b32 v[1:2], v53 offset1:182
	s_wait_dscnt 0x0
	v_lshrrev_b32_e32 v5, 16, v1
	s_delay_alu instid0(VALU_DEP_1) | instskip(NEXT) | instid1(VALU_DEP_1)
	v_mul_f16_e32 v3, v74, v5
	v_fmac_f16_e32 v3, v73, v1
	v_mul_f16_e32 v1, v74, v1
	s_delay_alu instid0(VALU_DEP_2) | instskip(NEXT) | instid1(VALU_DEP_2)
	v_cvt_f32_f16_e32 v3, v3
	v_fma_f16 v1, v73, v5, -v1
	s_delay_alu instid0(VALU_DEP_2) | instskip(NEXT) | instid1(VALU_DEP_2)
	v_cvt_f64_f32_e32 v[3:4], v3
	v_cvt_f32_f16_e32 v1, v1
	s_delay_alu instid0(VALU_DEP_1) | instskip(SKIP_4) | instid1(VALU_DEP_1)
	v_cvt_f64_f32_e32 v[5:6], v1
	v_add_nc_u32_e32 v1, 0xf00, v53
	ds_load_2addr_b32 v[7:8], v1 offset0:41 offset1:223
	s_wait_dscnt 0x0
	v_lshrrev_b32_e32 v1, 16, v7
	v_mul_f16_e32 v9, v72, v1
	s_wait_alu 0xfffe
	v_mul_f64_e32 v[3:4], s[10:11], v[3:4]
	s_delay_alu instid0(VALU_DEP_2) | instskip(SKIP_2) | instid1(VALU_DEP_3)
	v_fmac_f16_e32 v9, v70, v7
	v_mul_f16_e32 v7, v72, v7
	v_mul_f64_e32 v[5:6], s[10:11], v[5:6]
	v_cvt_f32_f16_e32 v9, v9
	s_delay_alu instid0(VALU_DEP_3) | instskip(NEXT) | instid1(VALU_DEP_1)
	v_fma_f16 v1, v70, v1, -v7
	v_cvt_f32_f16_e32 v1, v1
	v_and_or_b32 v3, 0x1ff, v4, v3
	v_lshrrev_b32_e32 v10, 8, v4
	v_bfe_u32 v11, v4, 20, 11
	s_delay_alu instid0(VALU_DEP_3)
	v_cmp_ne_u32_e64 s0, 0, v3
	v_and_or_b32 v5, 0x1ff, v6, v5
	v_lshrrev_b32_e32 v15, 8, v6
	v_bfe_u32 v16, v6, 20, 11
	v_add_nc_u32_e32 v17, 0xfffffc10, v11
	s_wait_alu 0xf1ff
	v_cndmask_b32_e64 v3, 0, 1, s0
	v_cmp_ne_u32_e64 s0, 0, v5
	v_lshrrev_b32_e32 v6, 16, v6
	v_add_nc_u32_e32 v20, 0xfffffc10, v16
	v_cmp_eq_u32_e64 s2, 0x40f, v17
	v_and_or_b32 v3, 0xffe, v10, v3
	v_sub_nc_u32_e32 v10, 0x3f1, v11
	s_wait_alu 0xf1ff
	v_cndmask_b32_e64 v5, 0, 1, s0
	s_delay_alu instid0(VALU_DEP_3) | instskip(NEXT) | instid1(VALU_DEP_3)
	v_or_b32_e32 v12, 0x1000, v3
	v_med3_i32 v13, v10, 0, 13
	v_cvt_f64_f32_e32 v[9:10], v9
	s_delay_alu instid0(VALU_DEP_4) | instskip(NEXT) | instid1(VALU_DEP_3)
	v_and_or_b32 v5, 0xffe, v15, v5
	v_lshrrev_b32_e32 v14, v13, v12
	s_delay_alu instid0(VALU_DEP_2) | instskip(NEXT) | instid1(VALU_DEP_2)
	v_or_b32_e32 v15, 0x1000, v5
	v_lshlrev_b32_e32 v13, v13, v14
	s_delay_alu instid0(VALU_DEP_1) | instskip(SKIP_3) | instid1(VALU_DEP_3)
	v_cmp_ne_u32_e64 s0, v13, v12
	v_sub_nc_u32_e32 v13, 0x3f1, v16
	v_cvt_f64_f32_e32 v[11:12], v1
	s_wait_alu 0xf1ff
	v_cndmask_b32_e64 v7, 0, 1, s0
	s_delay_alu instid0(VALU_DEP_3) | instskip(SKIP_1) | instid1(VALU_DEP_3)
	v_med3_i32 v1, v13, 0, 13
	v_cmp_gt_i32_e64 s0, 1, v17
	v_or_b32_e32 v7, v14, v7
	v_lshl_or_b32 v14, v17, 12, v3
	s_delay_alu instid0(VALU_DEP_4) | instskip(SKIP_1) | instid1(VALU_DEP_2)
	v_lshrrev_b32_e32 v18, v1, v15
	s_wait_alu 0xf1ff
	v_cndmask_b32_e64 v7, v14, v7, s0
	s_delay_alu instid0(VALU_DEP_2) | instskip(SKIP_1) | instid1(VALU_DEP_3)
	v_lshlrev_b32_e32 v1, v1, v18
	v_mad_co_u64_u32 v[13:14], null, s6, v30, 0
	v_and_b32_e32 v19, 7, v7
	s_delay_alu instid0(VALU_DEP_3) | instskip(SKIP_2) | instid1(VALU_DEP_4)
	v_cmp_ne_u32_e64 s1, v1, v15
	v_lshrrev_b32_e32 v7, 2, v7
	v_mul_f64_e32 v[9:10], s[10:11], v[9:10]
	v_cmp_lt_i32_e64 s0, 5, v19
	s_wait_alu 0xf1ff
	v_cndmask_b32_e64 v15, 0, 1, s1
	v_cmp_eq_u32_e64 s1, 3, v19
	v_mov_b32_e32 v1, v14
	s_delay_alu instid0(VALU_DEP_3) | instskip(NEXT) | instid1(VALU_DEP_3)
	v_or_b32_e32 v14, v18, v15
	s_or_b32 s0, s1, s0
	v_lshl_or_b32 v15, v20, 12, v5
	s_wait_alu 0xfffe
	v_add_co_ci_u32_e64 v7, s0, 0, v7, s0
	v_cmp_gt_i32_e64 s0, 1, v20
	v_lshrrev_b32_e32 v18, 16, v2
	v_mul_f64_e32 v[11:12], s[10:11], v[11:12]
	s_wait_alu 0xf1ff
	s_delay_alu instid0(VALU_DEP_3) | instskip(SKIP_3) | instid1(VALU_DEP_4)
	v_cndmask_b32_e64 v16, v15, v14, s0
	v_cmp_ne_u32_e64 s0, 0, v3
	v_mad_co_u64_u32 v[14:15], null, s7, v30, v[1:2]
	v_mul_f16_e32 v15, v71, v18
	v_and_b32_e32 v1, 7, v16
	s_wait_alu 0xf1ff
	v_cndmask_b32_e64 v3, 0, 1, s0
	v_cmp_gt_i32_e64 s0, 31, v17
	v_lshrrev_b32_e32 v17, 16, v4
	v_fmac_f16_e32 v15, v69, v2
	v_cmp_eq_u32_e64 s1, 3, v1
	v_lshl_or_b32 v3, v3, 9, 0x7c00
	s_wait_alu 0xf1ff
	v_cndmask_b32_e64 v7, 0x7c00, v7, s0
	v_cmp_lt_i32_e64 s0, 5, v1
	v_lshrrev_b32_e32 v1, 2, v16
	v_cvt_f32_f16_e32 v4, v15
	v_mad_co_u64_u32 v[15:16], null, s4, v67, 0
	s_delay_alu instid0(VALU_DEP_4)
	s_or_b32 s0, s1, s0
	v_cndmask_b32_e64 v7, v7, v3, s2
	s_wait_alu 0xfffe
	v_add_co_ci_u32_e64 v1, s0, 0, v1, s0
	v_cmp_gt_i32_e64 s0, 31, v20
	v_and_or_b32 v3, 0x1ff, v10, v9
	v_lshrrev_b32_e32 v19, 8, v10
	v_bfe_u32 v21, v10, 20, 11
	v_and_or_b32 v7, 0x8000, v17, v7
	s_wait_alu 0xf1ff
	v_cndmask_b32_e64 v1, 0x7c00, v1, s0
	v_cmp_ne_u32_e64 s0, 0, v5
	v_lshrrev_b32_e32 v10, 16, v10
	v_and_b32_e32 v23, 0xffff, v7
	s_wait_alu 0xf1ff
	s_delay_alu instid0(VALU_DEP_3) | instskip(SKIP_3) | instid1(VALU_DEP_4)
	v_cndmask_b32_e64 v5, 0, 1, s0
	v_cmp_ne_u32_e64 s0, 0, v3
	v_cvt_f64_f32_e32 v[3:4], v4
	v_and_or_b32 v11, 0x1ff, v12, v11
	v_lshl_or_b32 v5, v5, 9, 0x7c00
	s_wait_alu 0xf1ff
	v_cndmask_b32_e64 v9, 0, 1, s0
	v_cmp_eq_u32_e64 s0, 0x40f, v20
	s_delay_alu instid0(VALU_DEP_2) | instskip(SKIP_2) | instid1(VALU_DEP_3)
	v_and_or_b32 v9, 0xffe, v19, v9
	v_sub_nc_u32_e32 v19, 0x3f1, v21
	s_wait_alu 0xf1ff
	v_cndmask_b32_e64 v5, v1, v5, s0
	v_mov_b32_e32 v1, v16
	v_cmp_ne_u32_e64 s0, 0, v11
	v_or_b32_e32 v20, 0x1000, v9
	v_med3_i32 v19, v19, 0, 13
	v_and_or_b32 v17, 0x8000, v6, v5
	v_mad_co_u64_u32 v[5:6], null, s5, v67, v[1:2]
	v_mul_f16_e32 v1, v71, v2
	s_delay_alu instid0(VALU_DEP_4)
	v_lshrrev_b32_e32 v16, v19, v20
	s_wait_alu 0xf1ff
	v_cndmask_b32_e64 v6, 0, 1, s0
	v_lshrrev_b32_e32 v11, 8, v12
	v_lshl_or_b32 v17, v17, 16, v23
	v_fma_f16 v1, v69, v18, -v1
	v_lshlrev_b32_e32 v2, v19, v16
	v_bfe_u32 v18, v12, 20, 11
	v_and_or_b32 v11, 0xffe, v11, v6
	v_add_nc_u32_e32 v19, 0xfffffc10, v21
	v_cvt_f32_f16_e32 v1, v1
	v_cmp_ne_u32_e64 s0, v2, v20
	v_sub_nc_u32_e32 v6, 0x3f1, v18
	v_or_b32_e32 v21, 0x1000, v11
	v_lshl_or_b32 v20, v19, 12, v9
	v_lshrrev_b32_e32 v12, 16, v12
	s_wait_alu 0xf1ff
	v_cndmask_b32_e64 v2, 0, 1, s0
	v_med3_i32 v22, v6, 0, 13
	v_cmp_gt_i32_e64 s0, 1, v19
	v_mul_f64_e32 v[3:4], s[10:11], v[3:4]
	v_lshlrev_b64_e32 v[6:7], 2, v[13:14]
	v_or_b32_e32 v16, v16, v2
	v_cvt_f64_f32_e32 v[1:2], v1
	v_lshrrev_b32_e32 v24, v22, v21
	s_wait_alu 0xf1ff
	s_delay_alu instid0(VALU_DEP_3) | instskip(SKIP_1) | instid1(VALU_DEP_3)
	v_cndmask_b32_e64 v20, v20, v16, s0
	v_mov_b32_e32 v16, v5
	v_lshlrev_b32_e32 v14, v22, v24
	v_add_co_u32 v22, s0, s8, v6
	s_delay_alu instid0(VALU_DEP_4) | instskip(NEXT) | instid1(VALU_DEP_4)
	v_and_b32_e32 v13, 7, v20
	v_lshlrev_b64_e32 v[5:6], 2, v[15:16]
	s_delay_alu instid0(VALU_DEP_4)
	v_cmp_ne_u32_e64 s2, v14, v21
	s_wait_alu 0xf1ff
	v_add_co_ci_u32_e64 v7, s0, s9, v7, s0
	v_cmp_lt_i32_e64 s0, 5, v13
	v_cmp_eq_u32_e64 s1, 3, v13
	v_cndmask_b32_e64 v13, 0, 1, s2
	v_add_co_u32 v5, s2, v22, v5
	s_wait_alu 0xf1ff
	v_add_co_ci_u32_e64 v6, s2, v7, v6, s2
	v_lshrrev_b32_e32 v7, 2, v20
	v_add_nc_u32_e32 v15, 0xfffffc10, v18
	s_or_b32 s0, s1, s0
	v_or_b32_e32 v13, v24, v13
	v_lshrrev_b32_e32 v16, 16, v8
	s_wait_alu 0xfffe
	v_add_co_ci_u32_e64 v7, s0, 0, v7, s0
	v_lshl_or_b32 v14, v15, 12, v11
	v_cmp_gt_i32_e64 s0, 1, v15
	global_store_b32 v[5:6], v17, off
	s_wait_alu 0xf1ff
	v_cndmask_b32_e64 v13, v14, v13, s0
	v_cmp_ne_u32_e64 s0, 0, v9
	v_and_or_b32 v3, 0x1ff, v4, v3
	v_mul_f16_e32 v14, v68, v16
	v_mul_f64_e32 v[1:2], s[10:11], v[1:2]
	v_and_b32_e32 v18, 7, v13
	s_wait_alu 0xf1ff
	v_cndmask_b32_e64 v9, 0, 1, s0
	v_cmp_gt_i32_e64 s0, 31, v19
	v_cmp_ne_u32_e64 s1, 0, v3
	v_fmac_f16_e32 v14, v66, v8
	v_lshrrev_b32_e32 v20, 8, v4
	v_bfe_u32 v21, v4, 20, 11
	s_wait_alu 0xf1ff
	v_cndmask_b32_e64 v7, 0x7c00, v7, s0
	v_cmp_lt_i32_e64 s0, 5, v18
	v_cndmask_b32_e64 v3, 0, 1, s1
	v_cmp_eq_u32_e64 s1, 3, v18
	v_lshrrev_b32_e32 v18, 2, v13
	v_cvt_f32_f16_e32 v14, v14
	v_lshl_or_b32 v9, v9, 9, 0x7c00
	v_and_or_b32 v3, 0xffe, v20, v3
	s_or_b32 s0, s1, s0
	v_sub_nc_u32_e32 v20, 0x3f1, v21
	s_wait_alu 0xfffe
	v_add_co_ci_u32_e64 v18, s0, 0, v18, s0
	v_cmp_ne_u32_e64 s0, 0, v11
	v_cvt_f64_f32_e32 v[13:14], v14
	v_or_b32_e32 v22, 0x1000, v3
	v_med3_i32 v20, v20, 0, 13
	v_mul_f16_e32 v8, v68, v8
	s_wait_alu 0xf1ff
	v_cndmask_b32_e64 v11, 0, 1, s0
	v_cmp_gt_i32_e64 s0, 31, v15
	v_lshrrev_b32_e32 v4, 16, v4
	v_fma_f16 v8, v66, v16, -v8
	s_delay_alu instid0(VALU_DEP_4)
	v_lshl_or_b32 v11, v11, 9, 0x7c00
	s_wait_alu 0xf1ff
	v_cndmask_b32_e64 v18, 0x7c00, v18, s0
	v_cmp_eq_u32_e64 s0, 0x40f, v19
	v_add_nc_u32_e32 v16, 0xfffffc10, v21
	s_wait_alu 0xf1ff
	s_delay_alu instid0(VALU_DEP_2) | instskip(SKIP_3) | instid1(VALU_DEP_4)
	v_cndmask_b32_e64 v7, v7, v9, s0
	v_lshrrev_b32_e32 v9, v20, v22
	v_cmp_eq_u32_e64 s0, 0x40f, v15
	v_and_or_b32 v1, 0x1ff, v2, v1
	v_and_or_b32 v17, 0x8000, v10, v7
	s_delay_alu instid0(VALU_DEP_4)
	v_lshlrev_b32_e32 v15, v20, v9
	s_wait_alu 0xf1ff
	v_cndmask_b32_e64 v11, v18, v11, s0
	v_lshrrev_b32_e32 v10, 8, v2
	v_and_b32_e32 v17, 0xffff, v17
	v_cmp_ne_u32_e64 s0, v15, v22
	s_delay_alu instid0(VALU_DEP_4)
	v_and_or_b32 v11, 0x8000, v12, v11
	v_bfe_u32 v12, v2, 20, 11
	v_lshrrev_b32_e32 v2, 16, v2
	s_wait_alu 0xf1ff
	v_cndmask_b32_e64 v7, 0, 1, s0
	v_cmp_ne_u32_e64 s0, 0, v1
	v_lshl_or_b32 v17, v11, 16, v17
	s_delay_alu instid0(VALU_DEP_3) | instskip(SKIP_1) | instid1(VALU_DEP_3)
	v_or_b32_e32 v15, v9, v7
	s_wait_alu 0xf1ff
	v_cndmask_b32_e64 v1, 0, 1, s0
	v_cvt_f32_f16_e32 v9, v8
	v_mul_f64_e32 v[7:8], s[10:11], v[13:14]
	v_lshl_or_b32 v13, v16, 12, v3
	v_cmp_gt_i32_e64 s0, 1, v16
	v_and_or_b32 v18, 0xffe, v10, v1
	v_cvt_f64_f32_e32 v[9:10], v9
	v_sub_nc_u32_e32 v1, 0x3f1, v12
	s_wait_alu 0xf1ff
	v_cndmask_b32_e64 v13, v13, v15, s0
	v_or_b32_e32 v14, 0x1000, v18
	s_mul_u64 s[0:1], s[4:5], 0x3e9
	v_med3_i32 v1, v1, 0, 13
	s_wait_alu 0xfffe
	s_lshl_b64 s[8:9], s[0:1], 2
	v_and_b32_e32 v11, 7, v13
	s_wait_alu 0xfffe
	v_add_co_u32 v5, s0, v5, s8
	v_lshrrev_b32_e32 v15, v1, v14
	s_wait_alu 0xf1ff
	v_add_co_ci_u32_e64 v6, s0, s9, v6, s0
	v_cmp_lt_i32_e64 s0, 5, v11
	v_cmp_eq_u32_e64 s1, 3, v11
	v_lshlrev_b32_e32 v19, v1, v15
	ds_load_2addr_b32 v[0:1], v0 offset0:44 offset1:226
	v_lshrrev_b32_e32 v11, 2, v13
	global_store_b32 v[5:6], v17, off
	s_or_b32 s0, s1, s0
	v_cmp_ne_u32_e64 s2, v19, v14
	v_add_nc_u32_e32 v14, 0xfffffc10, v12
	s_wait_alu 0xfffe
	v_add_co_ci_u32_e64 v11, s0, 0, v11, s0
	v_cmp_ne_u32_e64 s0, 0, v3
	s_wait_alu 0xf1ff
	v_cndmask_b32_e64 v13, 0, 1, s2
	s_delay_alu instid0(VALU_DEP_2) | instskip(SKIP_1) | instid1(VALU_DEP_3)
	v_cndmask_b32_e64 v3, 0, 1, s0
	v_cmp_gt_i32_e64 s0, 31, v16
	v_or_b32_e32 v12, v15, v13
	v_lshl_or_b32 v13, v14, 12, v18
	v_and_or_b32 v7, 0x1ff, v8, v7
	v_lshl_or_b32 v3, v3, 9, 0x7c00
	s_wait_alu 0xf1ff
	v_cndmask_b32_e64 v11, 0x7c00, v11, s0
	v_cmp_gt_i32_e64 s0, 1, v14
	s_wait_dscnt 0x0
	v_lshrrev_b32_e32 v15, 16, v0
	v_mul_f64_e32 v[9:10], s[10:11], v[9:10]
	v_bfe_u32 v19, v8, 20, 11
	v_lshrrev_b32_e32 v22, 16, v8
	s_wait_alu 0xf1ff
	v_cndmask_b32_e64 v13, v13, v12, s0
	v_cmp_eq_u32_e64 s0, 0x40f, v16
	v_mul_f16_e32 v12, v65, v15
	v_lshrrev_b32_e32 v16, 8, v8
	s_wait_alu 0xf1ff
	s_delay_alu instid0(VALU_DEP_3)
	v_cndmask_b32_e64 v3, v11, v3, s0
	v_cmp_ne_u32_e64 s0, 0, v7
	v_and_b32_e32 v11, 7, v13
	v_fmac_f16_e32 v12, v64, v0
	v_lshrrev_b32_e32 v13, 2, v13
	v_mul_f16_e32 v0, v65, v0
	s_wait_alu 0xf1ff
	v_cndmask_b32_e64 v7, 0, 1, s0
	v_cmp_lt_i32_e64 s0, 5, v11
	v_cmp_eq_u32_e64 s1, 3, v11
	v_cvt_f32_f16_e32 v12, v12
	v_and_or_b32 v4, 0x8000, v4, v3
	v_and_or_b32 v7, 0xffe, v16, v7
	v_sub_nc_u32_e32 v16, 0x3f1, v19
	s_or_b32 s0, s1, s0
	v_cvt_f64_f32_e32 v[11:12], v12
	s_wait_alu 0xfffe
	v_add_co_ci_u32_e64 v13, s0, 0, v13, s0
	v_or_b32_e32 v20, 0x1000, v7
	v_med3_i32 v16, v16, 0, 13
	v_cmp_ne_u32_e64 s0, 0, v18
	v_fma_f16 v0, v64, v15, -v0
	v_and_b32_e32 v4, 0xffff, v4
	s_delay_alu instid0(VALU_DEP_4)
	v_lshrrev_b32_e32 v21, v16, v20
	s_wait_alu 0xf1ff
	v_cndmask_b32_e64 v18, 0, 1, s0
	v_cmp_gt_i32_e64 s0, 31, v14
	v_cvt_f32_f16_e32 v0, v0
	v_lshlrev_b32_e32 v3, v16, v21
	s_delay_alu instid0(VALU_DEP_4)
	v_lshl_or_b32 v18, v18, 9, 0x7c00
	s_wait_alu 0xf1ff
	v_cndmask_b32_e64 v13, 0x7c00, v13, s0
	v_cmp_eq_u32_e64 s0, 0x40f, v14
	v_and_or_b32 v9, 0x1ff, v10, v9
	s_wait_alu 0xf1ff
	s_delay_alu instid0(VALU_DEP_2)
	v_cndmask_b32_e64 v13, v13, v18, s0
	v_cmp_ne_u32_e64 s0, v3, v20
	v_add_nc_u32_e32 v18, 0xfffffc10, v19
	v_lshrrev_b32_e32 v19, 8, v10
	v_bfe_u32 v20, v10, 20, 11
	v_and_or_b32 v15, 0x8000, v2, v13
	s_wait_alu 0xf1ff
	v_cndmask_b32_e64 v3, 0, 1, s0
	v_cmp_ne_u32_e64 s0, 0, v9
	v_add_nc_u32_e32 v13, 0x1500, v53
	v_lshrrev_b32_e32 v10, 16, v10
	v_lshl_or_b32 v17, v15, 16, v4
	v_or_b32_e32 v16, v21, v3
	v_cvt_f64_f32_e32 v[2:3], v0
	v_lshl_or_b32 v0, v18, 12, v7
	s_wait_alu 0xf1ff
	v_cndmask_b32_e64 v9, 0, 1, s0
	v_cmp_gt_i32_e64 s0, 1, v18
	v_mul_f64_e32 v[11:12], s[10:11], v[11:12]
	ds_load_2addr_b32 v[13:14], v13 offset0:21 offset1:203
	v_and_or_b32 v9, 0xffe, v19, v9
	s_wait_alu 0xf1ff
	v_cndmask_b32_e64 v0, v0, v16, s0
	v_sub_nc_u32_e32 v16, 0x3f1, v20
	s_movk_i32 s0, 0xfccd
	s_mov_b32 s1, -1
	v_or_b32_e32 v19, 0x1000, v9
	v_and_b32_e32 v21, 7, v0
	v_med3_i32 v16, v16, 0, 13
	s_wait_alu 0xfffe
	s_mul_u64 s[2:3], s[4:5], s[0:1]
	v_lshrrev_b32_e32 v0, 2, v0
	s_wait_alu 0xfffe
	s_lshl_b64 s[12:13], s[2:3], 2
	v_cmp_lt_i32_e64 s0, 5, v21
	v_lshrrev_b32_e32 v4, v16, v19
	v_cmp_eq_u32_e64 s1, 3, v21
	s_delay_alu instid0(VALU_DEP_2) | instskip(NEXT) | instid1(VALU_DEP_2)
	v_lshlrev_b32_e32 v15, v16, v4
	s_or_b32 s0, s1, s0
	s_wait_dscnt 0x0
	v_lshrrev_b32_e32 v21, 16, v13
	s_wait_alu 0xfffe
	v_add_co_ci_u32_e64 v0, s0, 0, v0, s0
	v_cmp_ne_u32_e64 s0, v15, v19
	v_add_nc_u32_e32 v19, 0xfffffc10, v20
	v_mul_f16_e32 v16, v63, v21
	s_wait_alu 0xf1ff
	s_delay_alu instid0(VALU_DEP_3) | instskip(SKIP_1) | instid1(VALU_DEP_3)
	v_cndmask_b32_e64 v15, 0, 1, s0
	v_cmp_ne_u32_e64 s0, 0, v7
	v_fmac_f16_e32 v16, v62, v13
	v_mul_f16_e32 v13, v63, v13
	v_mul_f64_e32 v[2:3], s[10:11], v[2:3]
	v_or_b32_e32 v4, v4, v15
	s_wait_alu 0xf1ff
	v_cndmask_b32_e64 v7, 0, 1, s0
	v_cmp_gt_i32_e64 s0, 31, v18
	v_lshl_or_b32 v15, v19, 12, v9
	v_cvt_f32_f16_e32 v16, v16
	v_and_or_b32 v11, 0x1ff, v12, v11
	v_lshl_or_b32 v7, v7, 9, 0x7c00
	s_wait_alu 0xf1ff
	v_cndmask_b32_e64 v0, 0x7c00, v0, s0
	v_cmp_gt_i32_e64 s0, 1, v19
	v_fma_f16 v8, v62, v21, -v13
	s_wait_alu 0xf1ff
	s_delay_alu instid0(VALU_DEP_2)
	v_cndmask_b32_e64 v20, v15, v4, s0
	v_add_co_u32 v4, s0, v5, s12
	s_wait_alu 0xf1ff
	v_add_co_ci_u32_e64 v5, s0, s13, v6, s0
	v_cmp_eq_u32_e64 s0, 0x40f, v18
	v_cvt_f64_f32_e32 v[15:16], v16
	v_and_b32_e32 v6, 7, v20
	v_bfe_u32 v18, v12, 20, 11
	global_store_b32 v[4:5], v17, off
	s_wait_alu 0xf1ff
	v_cndmask_b32_e64 v0, v0, v7, s0
	v_cmp_ne_u32_e64 s0, 0, v11
	v_lshrrev_b32_e32 v11, 8, v12
	v_cmp_eq_u32_e64 s1, 3, v6
	v_lshrrev_b32_e32 v12, 16, v12
	v_and_or_b32 v0, 0x8000, v22, v0
	s_wait_alu 0xf1ff
	v_cndmask_b32_e64 v7, 0, 1, s0
	v_cmp_lt_i32_e64 s0, 5, v6
	v_lshrrev_b32_e32 v6, 2, v20
	s_delay_alu instid0(VALU_DEP_3) | instskip(SKIP_1) | instid1(VALU_DEP_4)
	v_and_or_b32 v11, 0xffe, v11, v7
	v_sub_nc_u32_e32 v7, 0x3f1, v18
	s_or_b32 s0, s1, s0
	v_and_or_b32 v2, 0x1ff, v3, v2
	v_bfe_u32 v25, v3, 20, 11
	v_or_b32_e32 v13, 0x1000, v11
	v_med3_i32 v20, v7, 0, 13
	v_cvt_f32_f16_e32 v7, v8
	s_wait_alu 0xfffe
	v_add_co_ci_u32_e64 v8, s0, 0, v6, s0
	v_cmp_gt_i32_e64 s0, 31, v19
	v_lshrrev_b32_e32 v21, v20, v13
	v_cvt_f64_f32_e32 v[6:7], v7
	v_add_nc_u32_e32 v18, 0xfffffc10, v18
	s_wait_alu 0xf1ff
	v_cndmask_b32_e64 v23, 0x7c00, v8, s0
	v_cmp_ne_u32_e64 s0, 0, v9
	v_lshlrev_b32_e32 v8, v20, v21
	v_lshrrev_b32_e32 v20, 8, v3
	v_lshrrev_b32_e32 v3, 16, v3
	s_wait_alu 0xf1ff
	v_cndmask_b32_e64 v24, 0, 1, s0
	v_cmp_ne_u32_e64 s0, 0, v2
	s_wait_alu 0xf1ff
	s_delay_alu instid0(VALU_DEP_1)
	v_cndmask_b32_e64 v2, 0, 1, s0
	v_cmp_ne_u32_e64 s0, v8, v13
	v_mul_f64_e32 v[8:9], s[10:11], v[15:16]
	v_sub_nc_u32_e32 v15, 0x3f1, v25
	v_lshl_or_b32 v16, v18, 12, v11
	v_and_or_b32 v2, 0xffe, v20, v2
	s_wait_alu 0xf1ff
	v_cndmask_b32_e64 v13, 0, 1, s0
	v_cmp_gt_i32_e64 s0, 1, v18
	v_lshl_or_b32 v20, v24, 9, 0x7c00
	v_med3_i32 v15, v15, 0, 13
	s_delay_alu instid0(VALU_DEP_4) | instskip(SKIP_2) | instid1(VALU_DEP_2)
	v_or_b32_e32 v13, v21, v13
	v_or_b32_e32 v21, 0x1000, v2
	s_wait_alu 0xf1ff
	v_cndmask_b32_e64 v13, v16, v13, s0
	v_cmp_eq_u32_e64 s0, 0x40f, v19
	s_delay_alu instid0(VALU_DEP_3) | instskip(SKIP_1) | instid1(VALU_DEP_2)
	v_lshrrev_b32_e32 v19, v15, v21
	s_wait_alu 0xf1ff
	v_cndmask_b32_e64 v16, v23, v20, s0
	v_and_b32_e32 v20, 7, v13
	v_mul_f64_e32 v[6:7], s[10:11], v[6:7]
	s_delay_alu instid0(VALU_DEP_3) | instskip(SKIP_1) | instid1(VALU_DEP_4)
	v_and_or_b32 v16, 0x8000, v10, v16
	v_lshlrev_b32_e32 v10, v15, v19
	v_cmp_lt_i32_e64 s0, 5, v20
	v_cmp_eq_u32_e64 s1, 3, v20
	v_and_b32_e32 v15, 0xffff, v0
	v_lshrrev_b32_e32 v0, 2, v13
	v_cmp_ne_u32_e64 s2, v10, v21
	v_add_nc_u32_e32 v13, 0xfffffc10, v25
	s_or_b32 s0, s1, s0
	v_lshl_or_b32 v15, v16, 16, v15
	s_wait_alu 0xfffe
	v_add_co_ci_u32_e64 v0, s0, 0, v0, s0
	v_cndmask_b32_e64 v10, 0, 1, s2
	v_cmp_ne_u32_e64 s0, 0, v11
	v_lshl_or_b32 v17, v13, 12, v2
	v_and_or_b32 v8, 0x1ff, v9, v8
	v_lshrrev_b32_e32 v21, 8, v9
	v_or_b32_e32 v10, v19, v10
	v_lshrrev_b32_e32 v19, 16, v1
	s_wait_alu 0xf1ff
	v_cndmask_b32_e64 v11, 0, 1, s0
	v_cmp_gt_i32_e64 s0, 1, v13
	v_bfe_u32 v22, v9, 20, 11
	s_delay_alu instid0(VALU_DEP_3) | instskip(SKIP_1) | instid1(VALU_DEP_3)
	v_lshl_or_b32 v11, v11, 9, 0x7c00
	s_wait_alu 0xf1ff
	v_cndmask_b32_e64 v17, v17, v10, s0
	v_mul_f16_e32 v10, v61, v19
	v_cmp_gt_i32_e64 s0, 31, v18
	s_delay_alu instid0(VALU_DEP_3) | instskip(NEXT) | instid1(VALU_DEP_3)
	v_and_b32_e32 v20, 7, v17
	v_fmac_f16_e32 v10, v60, v1
	s_wait_alu 0xf1ff
	s_delay_alu instid0(VALU_DEP_3)
	v_cndmask_b32_e64 v0, 0x7c00, v0, s0
	v_cmp_ne_u32_e64 s0, 0, v8
	v_lshrrev_b32_e32 v17, 2, v17
	v_cmp_eq_u32_e64 s1, 3, v20
	v_cvt_f32_f16_e32 v10, v10
	v_and_or_b32 v6, 0x1ff, v7, v6
	s_wait_alu 0xf1ff
	v_cndmask_b32_e64 v8, 0, 1, s0
	v_cmp_eq_u32_e64 s0, 0x40f, v18
	v_sub_nc_u32_e32 v18, 0x3f1, v22
	v_mul_f16_e32 v1, v61, v1
	v_bfe_u32 v23, v7, 20, 11
	v_and_or_b32 v8, 0xffe, v21, v8
	s_wait_alu 0xf1ff
	v_cndmask_b32_e64 v0, v0, v11, s0
	v_cvt_f64_f32_e32 v[10:11], v10
	v_cmp_lt_i32_e64 s0, 5, v20
	v_med3_i32 v18, v18, 0, 13
	v_or_b32_e32 v20, 0x1000, v8
	v_and_or_b32 v12, 0x8000, v12, v0
	v_fma_f16 v1, v60, v19, -v1
	s_or_b32 s0, s1, s0
	v_add_nc_u32_e32 v19, 0xfffffc10, v22
	s_wait_alu 0xfffe
	v_add_co_ci_u32_e64 v17, s0, 0, v17, s0
	v_cmp_gt_i32_e64 s0, 31, v13
	v_lshrrev_b32_e32 v21, v18, v20
	v_cvt_f32_f16_e32 v1, v1
	v_lshl_or_b32 v22, v19, 12, v8
	v_and_b32_e32 v12, 0xffff, v12
	s_wait_alu 0xf1ff
	v_cndmask_b32_e64 v17, 0x7c00, v17, s0
	v_cmp_ne_u32_e64 s0, 0, v6
	v_lshlrev_b32_e32 v0, v18, v21
	v_lshrrev_b32_e32 v18, 8, v7
	s_wait_alu 0xf1ff
	s_delay_alu instid0(VALU_DEP_3) | instskip(SKIP_1) | instid1(VALU_DEP_2)
	v_cndmask_b32_e64 v6, 0, 1, s0
	v_cmp_ne_u32_e64 s0, 0, v2
	v_and_or_b32 v6, 0xffe, v18, v6
	s_wait_alu 0xf1ff
	s_delay_alu instid0(VALU_DEP_2) | instskip(SKIP_3) | instid1(VALU_DEP_4)
	v_cndmask_b32_e64 v2, 0, 1, s0
	v_cmp_ne_u32_e64 s0, v0, v20
	v_sub_nc_u32_e32 v18, 0x3f1, v23
	v_or_b32_e32 v20, 0x1000, v6
	v_lshl_or_b32 v2, v2, 9, 0x7c00
	s_wait_alu 0xf1ff
	v_cndmask_b32_e64 v0, 0, 1, s0
	v_med3_i32 v18, v18, 0, 13
	v_cmp_eq_u32_e64 s0, 0x40f, v13
	v_mul_f64_e32 v[10:11], s[10:11], v[10:11]
	s_delay_alu instid0(VALU_DEP_4)
	v_or_b32_e32 v21, v21, v0
	v_cvt_f64_f32_e32 v[0:1], v1
	v_lshrrev_b32_e32 v24, v18, v20
	s_wait_alu 0xf1ff
	v_cndmask_b32_e64 v2, v17, v2, s0
	v_cmp_gt_i32_e64 s0, 1, v19
	s_delay_alu instid0(VALU_DEP_3) | instskip(NEXT) | instid1(VALU_DEP_3)
	v_lshlrev_b32_e32 v17, v18, v24
	v_and_or_b32 v16, 0x8000, v3, v2
	s_wait_alu 0xf1ff
	s_delay_alu instid0(VALU_DEP_3) | instskip(NEXT) | instid1(VALU_DEP_3)
	v_cndmask_b32_e64 v13, v22, v21, s0
	v_cmp_ne_u32_e64 s0, v17, v20
	v_add_nc_u32_e32 v20, 0xfffffc10, v23
	s_delay_alu instid0(VALU_DEP_3)
	v_and_b32_e32 v18, 7, v13
	v_lshl_or_b32 v12, v16, 16, v12
	v_lshrrev_b32_e32 v16, 16, v14
	s_wait_alu 0xf1ff
	v_cndmask_b32_e64 v17, 0, 1, s0
	v_add_co_u32 v2, s0, v4, s8
	s_wait_alu 0xf1ff
	v_add_co_ci_u32_e64 v3, s0, s9, v5, s0
	s_delay_alu instid0(VALU_DEP_3)
	v_or_b32_e32 v4, v24, v17
	v_lshl_or_b32 v5, v20, 12, v6
	v_cmp_gt_i32_e64 s2, 1, v20
	v_cmp_lt_i32_e64 s0, 5, v18
	v_cmp_eq_u32_e64 s1, 3, v18
	v_lshrrev_b32_e32 v13, 2, v13
	s_wait_alu 0xf1ff
	v_cndmask_b32_e64 v17, v5, v4, s2
	v_mul_f16_e32 v4, v59, v16
	s_or_b32 s0, s1, s0
	s_wait_alu 0xfffe
	v_add_co_ci_u32_e64 v5, s0, 0, v13, s0
	v_cmp_ne_u32_e64 s0, 0, v8
	v_fmac_f16_e32 v4, v58, v14
	v_and_or_b32 v10, 0x1ff, v11, v10
	v_and_b32_e32 v13, 7, v17
	v_mul_f64_e32 v[0:1], s[10:11], v[0:1]
	s_wait_alu 0xf1ff
	v_cndmask_b32_e64 v8, 0, 1, s0
	v_cmp_gt_i32_e64 s0, 31, v19
	v_cmp_ne_u32_e64 s2, 0, v10
	v_cvt_f32_f16_e32 v4, v4
	v_cmp_eq_u32_e64 s1, 3, v13
	v_lshl_or_b32 v8, v8, 9, 0x7c00
	s_wait_alu 0xf1ff
	v_cndmask_b32_e64 v18, 0x7c00, v5, s0
	v_cndmask_b32_e64 v10, 0, 1, s2
	v_cmp_eq_u32_e64 s2, 0x40f, v19
	v_cvt_f64_f32_e32 v[4:5], v4
	v_cmp_lt_i32_e64 s0, 5, v13
	v_lshrrev_b32_e32 v13, 8, v11
	v_bfe_u32 v21, v11, 20, 11
	s_wait_alu 0xf1ff
	v_cndmask_b32_e64 v18, v18, v8, s2
	v_lshrrev_b32_e32 v8, 2, v17
	s_or_b32 s0, s1, s0
	v_and_or_b32 v10, 0xffe, v13, v10
	v_sub_nc_u32_e32 v13, 0x3f1, v21
	v_lshrrev_b32_e32 v19, 16, v9
	s_wait_alu 0xfffe
	v_add_co_ci_u32_e64 v8, s0, 0, v8, s0
	v_cmp_ne_u32_e64 s0, 0, v6
	v_or_b32_e32 v17, 0x1000, v10
	v_med3_i32 v13, v13, 0, 13
	v_and_or_b32 v18, 0x8000, v19, v18
	v_lshrrev_b32_e32 v11, 16, v11
	s_wait_alu 0xf1ff
	v_cndmask_b32_e64 v6, 0, 1, s0
	v_cmp_gt_i32_e64 s0, 31, v20
	v_lshrrev_b32_e32 v23, v13, v17
	v_and_b32_e32 v18, 0xffff, v18
	s_delay_alu instid0(VALU_DEP_4)
	v_lshl_or_b32 v6, v6, 9, 0x7c00
	s_wait_alu 0xf1ff
	v_cndmask_b32_e64 v22, 0x7c00, v8, s0
	v_add_co_u32 v8, s0, v2, s12
	s_wait_alu 0xf1ff
	v_add_co_ci_u32_e64 v9, s0, s13, v3, s0
	v_lshlrev_b32_e32 v13, v13, v23
	v_cmp_eq_u32_e64 s0, 0x40f, v20
	v_and_or_b32 v0, 0x1ff, v1, v0
	v_lshrrev_b32_e32 v20, 16, v7
	v_mul_f16_e32 v7, v59, v14
	v_bfe_u32 v14, v1, 20, 11
	s_wait_alu 0xf1ff
	v_cndmask_b32_e64 v19, v22, v6, s0
	v_cmp_ne_u32_e64 s0, v13, v17
	v_lshrrev_b32_e32 v13, 8, v1
	v_fma_f16 v7, v58, v16, -v7
	v_mul_f64_e32 v[4:5], s[10:11], v[4:5]
	v_add_nc_u32_e32 v17, 0xfffffc10, v21
	s_wait_alu 0xf1ff
	v_cndmask_b32_e64 v6, 0, 1, s0
	v_cmp_ne_u32_e64 s0, 0, v0
	v_cvt_f32_f16_e32 v7, v7
	v_and_or_b32 v19, 0x8000, v20, v19
	v_lshl_or_b32 v21, v17, 12, v10
	v_or_b32_e32 v16, v23, v6
	s_wait_alu 0xf1ff
	v_cndmask_b32_e64 v0, 0, 1, s0
	v_sub_nc_u32_e32 v6, 0x3f1, v14
	v_cmp_gt_i32_e64 s0, 1, v17
	v_add_nc_u32_e32 v14, 0xfffffc10, v14
	v_cmp_eq_u32_e64 s2, 0x40f, v17
	v_and_or_b32 v0, 0xffe, v13, v0
	ds_load_b32 v13, v53 offset:2912
	v_med3_i32 v23, v6, 0, 13
	v_cvt_f64_f32_e32 v[6:7], v7
	s_wait_alu 0xf1ff
	v_cndmask_b32_e64 v16, v21, v16, s0
	v_or_b32_e32 v22, 0x1000, v0
	s_clause 0x1
	global_store_b32 v[2:3], v15, off
	global_store_b32 v[8:9], v12, off
	v_lshl_or_b32 v15, v19, 16, v18
	v_add_co_u32 v2, s0, v8, s8
	v_lshrrev_b32_e32 v20, v23, v22
	v_and_b32_e32 v12, 7, v16
	s_wait_alu 0xf1ff
	v_add_co_ci_u32_e64 v3, s0, s9, v9, s0
	ds_load_b32 v19, v53 offset:6916
	v_lshlrev_b32_e32 v18, v23, v20
	v_cmp_lt_i32_e64 s0, 5, v12
	v_lshrrev_b32_e32 v1, 16, v1
	s_delay_alu instid0(VALU_DEP_3) | instskip(SKIP_3) | instid1(VALU_DEP_2)
	v_cmp_ne_u32_e64 s1, v18, v22
	s_wait_dscnt 0x1
	v_lshrrev_b32_e32 v21, 16, v13
	s_wait_alu 0xf1ff
	v_cndmask_b32_e64 v8, 0, 1, s1
	v_cmp_eq_u32_e64 s1, 3, v12
	v_lshrrev_b32_e32 v12, 2, v16
	v_mul_f16_e32 v9, v57, v21
	v_lshl_or_b32 v16, v14, 12, v0
	v_or_b32_e32 v8, v20, v8
	s_or_b32 s0, s1, s0
	v_and_or_b32 v4, 0x1ff, v5, v4
	s_wait_alu 0xfffe
	v_add_co_ci_u32_e64 v12, s0, 0, v12, s0
	v_cmp_gt_i32_e64 s0, 1, v14
	v_fmac_f16_e32 v9, v56, v13
	v_lshrrev_b32_e32 v18, 8, v5
	v_bfe_u32 v20, v5, 20, 11
	s_wait_alu 0xf1ff
	v_cndmask_b32_e64 v16, v16, v8, s0
	v_cmp_ne_u32_e64 s0, 0, v4
	v_cvt_f32_f16_e32 v9, v9
	v_mul_f64_e32 v[6:7], s[10:11], v[6:7]
	s_delay_alu instid0(VALU_DEP_4)
	v_and_b32_e32 v22, 7, v16
	s_wait_alu 0xf1ff
	v_cndmask_b32_e64 v4, 0, 1, s0
	v_cmp_ne_u32_e64 s0, 0, v10
	v_cvt_f64_f32_e32 v[8:9], v9
	v_lshrrev_b32_e32 v16, 2, v16
	v_cmp_eq_u32_e64 s1, 3, v22
	v_and_or_b32 v4, 0xffe, v18, v4
	s_wait_alu 0xf1ff
	v_cndmask_b32_e64 v10, 0, 1, s0
	v_cmp_gt_i32_e64 s0, 31, v17
	v_sub_nc_u32_e32 v18, 0x3f1, v20
	v_or_b32_e32 v23, 0x1000, v4
	s_delay_alu instid0(VALU_DEP_4) | instskip(SKIP_4) | instid1(VALU_DEP_3)
	v_lshl_or_b32 v10, v10, 9, 0x7c00
	s_wait_alu 0xf1ff
	v_cndmask_b32_e64 v12, 0x7c00, v12, s0
	v_cmp_lt_i32_e64 s0, 5, v22
	v_med3_i32 v18, v18, 0, 13
	v_cndmask_b32_e64 v10, v12, v10, s2
	s_delay_alu instid0(VALU_DEP_3) | instskip(NEXT) | instid1(VALU_DEP_2)
	s_or_b32 s0, s1, s0
	v_lshrrev_b32_e32 v12, v18, v23
	s_wait_alu 0xfffe
	v_add_co_ci_u32_e64 v16, s0, 0, v16, s0
	v_cmp_ne_u32_e64 s0, 0, v0
	v_and_or_b32 v10, 0x8000, v11, v10
	v_lshlrev_b32_e32 v17, v18, v12
	v_add_nc_u32_e32 v18, 0xfffffc10, v20
	s_wait_alu 0xf1ff
	v_cndmask_b32_e64 v0, 0, 1, s0
	v_cmp_gt_i32_e64 s0, 31, v14
	v_and_b32_e32 v10, 0xffff, v10
	s_delay_alu instid0(VALU_DEP_3) | instskip(SKIP_1) | instid1(VALU_DEP_3)
	v_lshl_or_b32 v0, v0, 9, 0x7c00
	s_wait_alu 0xf1ff
	v_cndmask_b32_e64 v16, 0x7c00, v16, s0
	v_cmp_ne_u32_e64 s0, v17, v23
	v_and_or_b32 v6, 0x1ff, v7, v6
	s_wait_alu 0xf1ff
	s_delay_alu instid0(VALU_DEP_2) | instskip(SKIP_3) | instid1(VALU_DEP_4)
	v_cndmask_b32_e64 v17, 0, 1, s0
	v_cmp_eq_u32_e64 s0, 0x40f, v14
	v_mul_f64_e32 v[8:9], s[10:11], v[8:9]
	v_bfe_u32 v14, v7, 20, 11
	v_or_b32_e32 v11, v12, v17
	v_mul_f16_e32 v12, v57, v13
	s_wait_alu 0xf1ff
	v_cndmask_b32_e64 v0, v16, v0, s0
	v_lshl_or_b32 v13, v18, 12, v4
	v_cmp_gt_i32_e64 s0, 1, v18
	v_fma_f16 v12, v56, v21, -v12
	s_delay_alu instid0(VALU_DEP_4) | instskip(SKIP_1) | instid1(VALU_DEP_3)
	v_and_or_b32 v16, 0x8000, v1, v0
	s_wait_alu 0xf1ff
	v_cndmask_b32_e64 v11, v13, v11, s0
	v_cmp_ne_u32_e64 s0, 0, v6
	v_cvt_f32_f16_e32 v12, v12
	v_lshrrev_b32_e32 v13, 8, v7
	v_lshl_or_b32 v16, v16, 16, v10
	v_and_b32_e32 v17, 7, v11
	s_wait_alu 0xf1ff
	v_cndmask_b32_e64 v6, 0, 1, s0
	v_cvt_f64_f32_e32 v[0:1], v12
	v_sub_nc_u32_e32 v12, 0x3f1, v14
	v_lshrrev_b32_e32 v10, 2, v11
	v_cmp_lt_i32_e64 s0, 5, v17
	v_and_or_b32 v6, 0xffe, v13, v6
	s_wait_dscnt 0x0
	v_lshrrev_b32_e32 v13, 16, v19
	v_cmp_eq_u32_e64 s1, 3, v17
	v_med3_i32 v12, v12, 0, 13
	v_add_nc_u32_e32 v14, 0xfffffc10, v14
	v_or_b32_e32 v20, 0x1000, v6
	v_mul_f16_e32 v21, v55, v13
	s_or_b32 s0, s1, s0
	s_wait_alu 0xfffe
	v_add_co_ci_u32_e64 v10, s0, 0, v10, s0
	v_lshrrev_b32_e32 v17, v12, v20
	v_fmac_f16_e32 v21, v54, v19
	v_cmp_ne_u32_e64 s0, 0, v4
	v_mul_f16_e32 v19, v55, v19
	v_and_or_b32 v8, 0x1ff, v9, v8
	v_lshlrev_b32_e32 v12, v12, v17
	v_cvt_f32_f16_e32 v11, v21
	s_wait_alu 0xf1ff
	v_cndmask_b32_e64 v4, 0, 1, s0
	v_cmp_gt_i32_e64 s0, 31, v18
	v_fma_f16 v13, v54, v13, -v19
	v_lshl_or_b32 v19, v14, 12, v6
	s_delay_alu instid0(VALU_DEP_4)
	v_lshl_or_b32 v4, v4, 9, 0x7c00
	s_wait_alu 0xf1ff
	v_cndmask_b32_e64 v21, 0x7c00, v10, s0
	v_cvt_f64_f32_e32 v[10:11], v11
	v_cmp_ne_u32_e64 s0, v12, v20
	v_lshrrev_b32_e32 v20, 8, v9
	v_cvt_f32_f16_e32 v13, v13
	s_wait_alu 0xf1ff
	s_delay_alu instid0(VALU_DEP_3) | instskip(SKIP_2) | instid1(VALU_DEP_3)
	v_cndmask_b32_e64 v12, 0, 1, s0
	v_cmp_ne_u32_e64 s0, 0, v8
	v_mul_f64_e32 v[0:1], s[10:11], v[0:1]
	v_or_b32_e32 v12, v17, v12
	s_wait_alu 0xf1ff
	s_delay_alu instid0(VALU_DEP_3) | instskip(SKIP_3) | instid1(VALU_DEP_4)
	v_cndmask_b32_e64 v8, 0, 1, s0
	v_bfe_u32 v17, v9, 20, 11
	v_cmp_gt_i32_e64 s0, 1, v14
	v_lshrrev_b32_e32 v9, 16, v9
	v_and_or_b32 v8, 0xffe, v20, v8
	s_delay_alu instid0(VALU_DEP_4)
	v_sub_nc_u32_e32 v20, 0x3f1, v17
	s_wait_alu 0xf1ff
	v_cndmask_b32_e64 v19, v19, v12, s0
	v_cmp_eq_u32_e64 s0, 0x40f, v18
	v_cvt_f64_f32_e32 v[12:13], v13
	v_or_b32_e32 v22, 0x1000, v8
	v_med3_i32 v20, v20, 0, 13
	v_and_b32_e32 v23, 7, v19
	s_wait_alu 0xf1ff
	v_cndmask_b32_e64 v18, v21, v4, s0
	v_add_co_u32 v4, s0, v2, s12
	v_lshrrev_b32_e32 v24, v20, v22
	v_lshrrev_b32_e32 v21, 16, v5
	s_wait_alu 0xf1ff
	v_add_co_ci_u32_e64 v5, s0, s13, v3, s0
	v_cmp_lt_i32_e64 s0, 5, v23
	v_cmp_eq_u32_e64 s1, 3, v23
	v_lshrrev_b32_e32 v19, 2, v19
	v_lshlrev_b32_e32 v20, v20, v24
	v_add_nc_u32_e32 v17, 0xfffffc10, v17
	v_and_or_b32 v18, 0x8000, v21, v18
	s_or_b32 s0, s1, s0
	v_mul_f64_e32 v[10:11], s[10:11], v[10:11]
	s_wait_alu 0xfffe
	v_add_co_ci_u32_e64 v19, s0, 0, v19, s0
	v_cmp_ne_u32_e64 s2, v20, v22
	v_cmp_ne_u32_e64 s0, 0, v6
	v_lshl_or_b32 v21, v17, 12, v8
	s_wait_alu 0xf1ff
	s_delay_alu instid0(VALU_DEP_3) | instskip(NEXT) | instid1(VALU_DEP_3)
	v_cndmask_b32_e64 v20, 0, 1, s2
	v_cndmask_b32_e64 v6, 0, 1, s0
	v_cmp_gt_i32_e64 s0, 31, v14
	v_and_or_b32 v0, 0x1ff, v1, v0
	v_lshrrev_b32_e32 v22, 8, v1
	v_or_b32_e32 v20, v24, v20
	v_lshl_or_b32 v6, v6, 9, 0x7c00
	s_wait_alu 0xf1ff
	v_cndmask_b32_e64 v19, 0x7c00, v19, s0
	v_cmp_gt_i32_e64 s0, 1, v17
	s_wait_alu 0xf1ff
	s_delay_alu instid0(VALU_DEP_1) | instskip(SKIP_1) | instid1(VALU_DEP_2)
	v_cndmask_b32_e64 v20, v21, v20, s0
	v_cmp_eq_u32_e64 s0, 0x40f, v14
	v_and_b32_e32 v21, 7, v20
	s_wait_alu 0xf1ff
	s_delay_alu instid0(VALU_DEP_2)
	v_cndmask_b32_e64 v14, v19, v6, s0
	v_lshrrev_b32_e32 v19, 16, v7
	v_cmp_ne_u32_e64 s0, 0, v0
	v_mul_f64_e32 v[6:7], s[10:11], v[12:13]
	v_bfe_u32 v12, v1, 20, 11
	v_cmp_eq_u32_e64 s1, 3, v21
	v_and_or_b32 v13, 0x8000, v19, v14
	v_and_b32_e32 v14, 0xffff, v18
	s_wait_alu 0xf1ff
	v_cndmask_b32_e64 v0, 0, 1, s0
	v_cmp_lt_i32_e64 s0, 5, v21
	v_sub_nc_u32_e32 v18, 0x3f1, v12
	v_and_or_b32 v10, 0x1ff, v11, v10
	v_lshl_or_b32 v13, v13, 16, v14
	v_lshrrev_b32_e32 v14, 2, v20
	v_and_or_b32 v0, 0xffe, v22, v0
	s_or_b32 s0, s1, s0
	v_med3_i32 v18, v18, 0, 13
	v_lshrrev_b32_e32 v21, 8, v11
	s_wait_alu 0xfffe
	v_add_co_ci_u32_e64 v14, s0, 0, v14, s0
	v_or_b32_e32 v19, 0x1000, v0
	v_cmp_ne_u32_e64 s0, 0, v8
	v_bfe_u32 v22, v11, 20, 11
	v_add_nc_u32_e32 v12, 0xfffffc10, v12
	v_lshrrev_b32_e32 v1, 16, v1
	v_lshrrev_b32_e32 v20, v18, v19
	s_wait_alu 0xf1ff
	v_cndmask_b32_e64 v8, 0, 1, s0
	v_cmp_gt_i32_e64 s0, 31, v17
	v_lshrrev_b32_e32 v11, 16, v11
	v_lshlrev_b32_e32 v18, v18, v20
	s_delay_alu instid0(VALU_DEP_4) | instskip(SKIP_4) | instid1(VALU_DEP_1)
	v_lshl_or_b32 v8, v8, 9, 0x7c00
	s_wait_alu 0xf1ff
	v_cndmask_b32_e64 v14, 0x7c00, v14, s0
	v_cmp_ne_u32_e64 s0, 0, v10
	s_wait_alu 0xf1ff
	v_cndmask_b32_e64 v10, 0, 1, s0
	v_cmp_ne_u32_e64 s0, v18, v19
	v_sub_nc_u32_e32 v19, 0x3f1, v22
	v_and_or_b32 v6, 0x1ff, v7, v6
	s_delay_alu instid0(VALU_DEP_4)
	v_and_or_b32 v10, 0xffe, v21, v10
	s_wait_alu 0xf1ff
	v_cndmask_b32_e64 v18, 0, 1, s0
	v_cmp_eq_u32_e64 s0, 0x40f, v17
	v_lshl_or_b32 v17, v12, 12, v0
	v_med3_i32 v19, v19, 0, 13
	v_bfe_u32 v21, v7, 20, 11
	s_wait_alu 0xf1ff
	v_cndmask_b32_e64 v8, v14, v8, s0
	v_or_b32_e32 v14, v20, v18
	v_or_b32_e32 v18, 0x1000, v10
	v_cmp_gt_i32_e64 s0, 1, v12
	v_lshrrev_b32_e32 v20, 8, v7
	v_and_or_b32 v8, 0x8000, v9, v8
	v_sub_nc_u32_e32 v9, 0x3f1, v21
	s_wait_alu 0xf1ff
	v_cndmask_b32_e64 v14, v17, v14, s0
	v_lshrrev_b32_e32 v17, v19, v18
	v_cmp_ne_u32_e64 s0, 0, v6
	v_med3_i32 v9, v9, 0, 13
	s_delay_alu instid0(VALU_DEP_4) | instskip(NEXT) | instid1(VALU_DEP_4)
	v_and_b32_e32 v23, 7, v14
	v_lshlrev_b32_e32 v19, v19, v17
	s_wait_alu 0xf1ff
	v_cndmask_b32_e64 v6, 0, 1, s0
	v_lshrrev_b32_e32 v14, 2, v14
	v_cmp_lt_i32_e64 s0, 5, v23
	v_cmp_ne_u32_e64 s1, v19, v18
	s_delay_alu instid0(VALU_DEP_4) | instskip(SKIP_2) | instid1(VALU_DEP_3)
	v_and_or_b32 v6, 0xffe, v20, v6
	v_add_nc_u32_e32 v20, 0xfffffc10, v22
	s_wait_alu 0xf1ff
	v_cndmask_b32_e64 v18, 0, 1, s1
	v_cmp_eq_u32_e64 s1, 3, v23
	v_or_b32_e32 v19, 0x1000, v6
	v_lshl_or_b32 v22, v20, 12, v10
	s_delay_alu instid0(VALU_DEP_4) | instskip(NEXT) | instid1(VALU_DEP_4)
	v_or_b32_e32 v17, v17, v18
	s_or_b32 s0, s1, s0
	s_delay_alu instid0(VALU_DEP_3) | instskip(SKIP_3) | instid1(VALU_DEP_3)
	v_lshrrev_b32_e32 v18, v9, v19
	s_wait_alu 0xfffe
	v_add_co_ci_u32_e64 v14, s0, 0, v14, s0
	v_cmp_gt_i32_e64 s0, 1, v20
	v_lshlrev_b32_e32 v9, v9, v18
	s_wait_alu 0xf1ff
	s_delay_alu instid0(VALU_DEP_2) | instskip(SKIP_2) | instid1(VALU_DEP_1)
	v_cndmask_b32_e64 v17, v22, v17, s0
	v_cmp_ne_u32_e64 s0, 0, v0
	s_wait_alu 0xf1ff
	v_cndmask_b32_e64 v0, 0, 1, s0
	v_cmp_ne_u32_e64 s0, v9, v19
	v_add_nc_u32_e32 v19, 0xfffffc10, v21
	v_and_b32_e32 v21, 7, v17
	s_delay_alu instid0(VALU_DEP_4)
	v_lshl_or_b32 v0, v0, 9, 0x7c00
	s_wait_alu 0xf1ff
	v_cndmask_b32_e64 v9, 0, 1, s0
	v_cmp_gt_i32_e64 s0, 31, v12
	v_cmp_gt_i32_e64 s2, 1, v19
	v_cmp_eq_u32_e64 s1, 3, v21
	s_delay_alu instid0(VALU_DEP_4) | instskip(SKIP_4) | instid1(VALU_DEP_3)
	v_or_b32_e32 v9, v18, v9
	v_lshl_or_b32 v18, v19, 12, v6
	s_wait_alu 0xf1ff
	v_cndmask_b32_e64 v14, 0x7c00, v14, s0
	v_cmp_lt_i32_e64 s0, 5, v21
	v_cndmask_b32_e64 v9, v18, v9, s2
	v_cmp_eq_u32_e64 s2, 0x40f, v12
	v_lshrrev_b32_e32 v12, 2, v17
	s_delay_alu instid0(VALU_DEP_4) | instskip(NEXT) | instid1(VALU_DEP_2)
	s_or_b32 s0, s1, s0
	v_cndmask_b32_e64 v0, v14, v0, s2
	s_wait_alu 0xfffe
	s_delay_alu instid0(VALU_DEP_2)
	v_add_co_ci_u32_e64 v12, s0, 0, v12, s0
	v_and_b32_e32 v14, 7, v9
	v_cmp_ne_u32_e64 s0, 0, v10
	v_lshrrev_b32_e32 v9, 2, v9
	v_cmp_gt_i32_e64 s2, 31, v20
	v_and_or_b32 v0, 0x8000, v1, v0
	v_cmp_eq_u32_e64 s1, 3, v14
	s_wait_alu 0xf1ff
	v_cndmask_b32_e64 v10, 0, 1, s0
	v_cmp_lt_i32_e64 s0, 5, v14
	v_cndmask_b32_e64 v12, 0x7c00, v12, s2
	v_and_b32_e32 v1, 0xffff, v8
	s_delay_alu instid0(VALU_DEP_4) | instskip(NEXT) | instid1(VALU_DEP_4)
	v_lshl_or_b32 v10, v10, 9, 0x7c00
	s_or_b32 s0, s1, s0
	s_wait_alu 0xfffe
	v_add_co_ci_u32_e64 v9, s0, 0, v9, s0
	v_cmp_ne_u32_e64 s0, 0, v6
	s_wait_alu 0xf1ff
	s_delay_alu instid0(VALU_DEP_1) | instskip(SKIP_1) | instid1(VALU_DEP_2)
	v_cndmask_b32_e64 v6, 0, 1, s0
	v_cmp_eq_u32_e64 s0, 0x40f, v20
	v_lshl_or_b32 v6, v6, 9, 0x7c00
	s_wait_alu 0xf1ff
	s_delay_alu instid0(VALU_DEP_2) | instskip(SKIP_1) | instid1(VALU_DEP_2)
	v_cndmask_b32_e64 v10, v12, v10, s0
	v_cmp_gt_i32_e64 s0, 31, v19
	v_and_or_b32 v8, 0x8000, v11, v10
	s_wait_alu 0xf1ff
	s_delay_alu instid0(VALU_DEP_2)
	v_cndmask_b32_e64 v9, 0x7c00, v9, s0
	v_cmp_eq_u32_e64 s0, 0x40f, v19
	v_lshrrev_b32_e32 v10, 16, v7
	v_lshl_or_b32 v11, v0, 16, v1
	v_and_b32_e32 v1, 0xffff, v8
	s_wait_alu 0xf1ff
	v_cndmask_b32_e64 v9, v9, v6, s0
	v_add_co_u32 v6, s0, v4, s8
	s_wait_alu 0xf1ff
	v_add_co_ci_u32_e64 v7, s0, s9, v5, s0
	s_delay_alu instid0(VALU_DEP_3) | instskip(NEXT) | instid1(VALU_DEP_3)
	v_and_or_b32 v0, 0x8000, v10, v9
	v_add_co_u32 v8, s0, v6, s12
	s_wait_alu 0xf1ff
	s_delay_alu instid0(VALU_DEP_3) | instskip(NEXT) | instid1(VALU_DEP_3)
	v_add_co_ci_u32_e64 v9, s0, s13, v7, s0
	v_lshl_or_b32 v10, v0, 16, v1
	s_delay_alu instid0(VALU_DEP_3) | instskip(SKIP_1) | instid1(VALU_DEP_3)
	v_add_co_u32 v0, s0, v8, s8
	s_wait_alu 0xf1ff
	v_add_co_ci_u32_e64 v1, s0, s9, v9, s0
	global_store_b32 v[2:3], v15, off
	global_store_b32 v[4:5], v16, off
	;; [unrolled: 1-line block ×5, first 2 shown]
	s_and_b32 exec_lo, exec_lo, vcc_lo
	s_cbranch_execz .LBB0_31
; %bb.30:
	s_clause 0x1
	global_load_b32 v2, v[28:29], off offset:3640
	global_load_b32 v4, v[28:29], off offset:7644
	ds_load_b32 v3, v53 offset:3640
	ds_load_b32 v5, v53 offset:7644
	s_wait_dscnt 0x1
	v_lshrrev_b32_e32 v6, 16, v3
	s_wait_dscnt 0x0
	v_lshrrev_b32_e32 v9, 16, v5
	s_wait_loadcnt 0x1
	v_lshrrev_b32_e32 v7, 16, v2
	s_wait_loadcnt 0x0
	v_lshrrev_b32_e32 v10, 16, v4
	s_delay_alu instid0(VALU_DEP_2) | instskip(SKIP_1) | instid1(VALU_DEP_3)
	v_mul_f16_e32 v8, v6, v7
	v_mul_f16_e32 v7, v3, v7
	;; [unrolled: 1-line block ×3, first 2 shown]
	s_delay_alu instid0(VALU_DEP_3) | instskip(NEXT) | instid1(VALU_DEP_3)
	v_fmac_f16_e32 v8, v3, v2
	v_fma_f16 v2, v2, v6, -v7
	v_mul_f16_e32 v6, v5, v10
	s_delay_alu instid0(VALU_DEP_4) | instskip(NEXT) | instid1(VALU_DEP_4)
	v_fmac_f16_e32 v11, v5, v4
	v_cvt_f32_f16_e32 v3, v8
	s_delay_alu instid0(VALU_DEP_4) | instskip(NEXT) | instid1(VALU_DEP_4)
	v_cvt_f32_f16_e32 v5, v2
	v_fma_f16 v6, v4, v9, -v6
	s_delay_alu instid0(VALU_DEP_4) | instskip(NEXT) | instid1(VALU_DEP_4)
	v_cvt_f32_f16_e32 v7, v11
	v_cvt_f64_f32_e32 v[2:3], v3
	s_delay_alu instid0(VALU_DEP_4) | instskip(NEXT) | instid1(VALU_DEP_4)
	v_cvt_f64_f32_e32 v[4:5], v5
	v_cvt_f32_f16_e32 v8, v6
	s_delay_alu instid0(VALU_DEP_4) | instskip(NEXT) | instid1(VALU_DEP_2)
	v_cvt_f64_f32_e32 v[6:7], v7
	v_cvt_f64_f32_e32 v[8:9], v8
	v_mul_f64_e32 v[2:3], s[10:11], v[2:3]
	v_mul_f64_e32 v[4:5], s[10:11], v[4:5]
	s_delay_alu instid0(VALU_DEP_4) | instskip(NEXT) | instid1(VALU_DEP_4)
	v_mul_f64_e32 v[6:7], s[10:11], v[6:7]
	v_mul_f64_e32 v[8:9], s[10:11], v[8:9]
	s_delay_alu instid0(VALU_DEP_4) | instskip(NEXT) | instid1(VALU_DEP_4)
	v_and_or_b32 v2, 0x1ff, v3, v2
	v_and_or_b32 v4, 0x1ff, v5, v4
	v_lshrrev_b32_e32 v10, 8, v3
	v_and_or_b32 v6, 0x1ff, v7, v6
	v_bfe_u32 v11, v3, 20, 11
	v_cmp_ne_u32_e32 vcc_lo, 0, v2
	v_lshrrev_b32_e32 v12, 8, v5
	v_and_or_b32 v8, 0x1ff, v9, v8
	v_bfe_u32 v13, v5, 20, 11
	v_lshrrev_b32_e32 v14, 8, v7
	s_wait_alu 0xfffd
	v_cndmask_b32_e64 v2, 0, 1, vcc_lo
	v_cmp_ne_u32_e32 vcc_lo, 0, v4
	v_bfe_u32 v15, v7, 20, 11
	v_bfe_u32 v17, v9, 20, 11
	v_sub_nc_u32_e32 v18, 0x3f1, v11
	v_and_or_b32 v2, 0xffe, v10, v2
	s_wait_alu 0xfffd
	v_cndmask_b32_e64 v4, 0, 1, vcc_lo
	v_cmp_ne_u32_e32 vcc_lo, 0, v6
	v_add_nc_u32_e32 v11, 0xfffffc10, v11
	v_sub_nc_u32_e32 v19, 0x3f1, v13
	v_lshrrev_b32_e32 v16, 8, v9
	v_and_or_b32 v4, 0xffe, v12, v4
	s_wait_alu 0xfffd
	v_cndmask_b32_e64 v6, 0, 1, vcc_lo
	v_cmp_ne_u32_e32 vcc_lo, 0, v8
	v_add_nc_u32_e32 v13, 0xfffffc10, v13
	v_sub_nc_u32_e32 v20, 0x3f1, v15
	v_sub_nc_u32_e32 v21, 0x3f1, v17
	v_med3_i32 v10, v18, 0, 13
	s_wait_alu 0xfffd
	v_cndmask_b32_e64 v8, 0, 1, vcc_lo
	v_cmp_ne_u32_e32 vcc_lo, 0, v2
	v_med3_i32 v12, v19, 0, 13
	v_and_or_b32 v6, 0xffe, v14, v6
	v_or_b32_e32 v18, 0x1000, v2
	v_lshl_or_b32 v19, v11, 12, v2
	s_wait_alu 0xfffd
	v_cndmask_b32_e64 v2, 0, 1, vcc_lo
	v_cmp_ne_u32_e32 vcc_lo, 0, v4
	v_add_nc_u32_e32 v15, 0xfffffc10, v15
	v_med3_i32 v14, v20, 0, 13
	v_and_or_b32 v8, 0xffe, v16, v8
	v_med3_i32 v16, v21, 0, 13
	v_or_b32_e32 v20, 0x1000, v4
	v_lshl_or_b32 v21, v13, 12, v4
	s_wait_alu 0xfffd
	v_cndmask_b32_e64 v4, 0, 1, vcc_lo
	v_cmp_ne_u32_e32 vcc_lo, 0, v6
	v_lshrrev_b32_e32 v26, v10, v18
	v_add_nc_u32_e32 v17, 0xfffffc10, v17
	v_or_b32_e32 v22, 0x1000, v6
	v_lshl_or_b32 v23, v15, 12, v6
	s_wait_alu 0xfffd
	v_cndmask_b32_e64 v6, 0, 1, vcc_lo
	v_cmp_ne_u32_e32 vcc_lo, 0, v8
	v_lshrrev_b32_e32 v27, v12, v20
	v_lshlrev_b32_e32 v10, v10, v26
	v_or_b32_e32 v24, 0x1000, v8
	v_lshl_or_b32 v25, v17, 12, v8
	s_wait_alu 0xfffd
	v_cndmask_b32_e64 v8, 0, 1, vcc_lo
	v_lshrrev_b32_e32 v28, v14, v22
	v_lshlrev_b32_e32 v12, v12, v27
	v_cmp_ne_u32_e32 vcc_lo, v10, v18
	v_lshrrev_b32_e32 v29, v16, v24
	v_lshl_or_b32 v2, v2, 9, 0x7c00
	v_lshlrev_b32_e32 v14, v14, v28
	v_lshl_or_b32 v6, v6, 9, 0x7c00
	s_wait_alu 0xfffd
	v_cndmask_b32_e64 v10, 0, 1, vcc_lo
	v_cmp_ne_u32_e32 vcc_lo, v12, v20
	v_lshlrev_b32_e32 v16, v16, v29
	v_lshl_or_b32 v4, v4, 9, 0x7c00
	v_lshrrev_b32_e32 v3, 16, v3
	v_or_b32_e32 v10, v26, v10
	s_wait_alu 0xfffd
	v_cndmask_b32_e64 v12, 0, 1, vcc_lo
	v_cmp_ne_u32_e32 vcc_lo, v14, v22
	v_lshrrev_b32_e32 v7, 16, v7
	v_lshl_or_b32 v8, v8, 9, 0x7c00
	v_lshrrev_b32_e32 v5, 16, v5
	v_or_b32_e32 v12, v27, v12
	s_wait_alu 0xfffd
	v_cndmask_b32_e64 v14, 0, 1, vcc_lo
	v_cmp_ne_u32_e32 vcc_lo, v16, v24
	v_lshrrev_b32_e32 v9, 16, v9
	s_delay_alu instid0(VALU_DEP_3) | instskip(SKIP_3) | instid1(VALU_DEP_2)
	v_or_b32_e32 v14, v28, v14
	s_wait_alu 0xfffd
	v_cndmask_b32_e64 v16, 0, 1, vcc_lo
	v_cmp_gt_i32_e32 vcc_lo, 1, v11
	v_or_b32_e32 v16, v29, v16
	s_wait_alu 0xfffd
	v_cndmask_b32_e32 v10, v19, v10, vcc_lo
	v_cmp_gt_i32_e32 vcc_lo, 1, v13
	s_delay_alu instid0(VALU_DEP_2)
	v_and_b32_e32 v18, 7, v10
	s_wait_alu 0xfffd
	v_cndmask_b32_e32 v12, v21, v12, vcc_lo
	v_cmp_gt_i32_e32 vcc_lo, 1, v15
	v_lshrrev_b32_e32 v10, 2, v10
	v_cmp_eq_u32_e64 s0, 3, v18
	s_wait_alu 0xfffd
	v_cndmask_b32_e32 v14, v23, v14, vcc_lo
	v_cmp_gt_i32_e32 vcc_lo, 1, v17
	s_delay_alu instid0(VALU_DEP_2)
	v_and_b32_e32 v20, 7, v14
	s_wait_alu 0xfffd
	v_cndmask_b32_e32 v16, v25, v16, vcc_lo
	v_cmp_lt_i32_e32 vcc_lo, 5, v18
	v_lshrrev_b32_e32 v14, 2, v14
	v_cmp_lt_i32_e64 s3, 5, v20
	v_cmp_eq_u32_e64 s4, 3, v20
	s_or_b32 vcc_lo, s0, vcc_lo
	s_wait_alu 0xfffe
	v_add_co_ci_u32_e32 v10, vcc_lo, 0, v10, vcc_lo
	v_and_b32_e32 v19, 7, v12
	v_lshrrev_b32_e32 v12, 2, v12
	s_delay_alu instid0(VALU_DEP_2) | instskip(SKIP_1) | instid1(VALU_DEP_1)
	v_cmp_lt_i32_e64 s1, 5, v19
	v_cmp_eq_u32_e64 s2, 3, v19
	s_or_b32 vcc_lo, s2, s1
	s_wait_alu 0xfffe
	v_add_co_ci_u32_e32 v12, vcc_lo, 0, v12, vcc_lo
	s_or_b32 vcc_lo, s4, s3
	s_wait_alu 0xfffe
	v_add_co_ci_u32_e32 v14, vcc_lo, 0, v14, vcc_lo
	v_and_b32_e32 v21, 7, v16
	v_lshrrev_b32_e32 v16, 2, v16
	s_delay_alu instid0(VALU_DEP_2) | instskip(SKIP_1) | instid1(VALU_DEP_1)
	v_cmp_lt_i32_e64 s5, 5, v21
	v_cmp_eq_u32_e64 s6, 3, v21
	s_or_b32 vcc_lo, s6, s5
	s_wait_alu 0xfffe
	v_add_co_ci_u32_e32 v16, vcc_lo, 0, v16, vcc_lo
	v_cmp_gt_i32_e32 vcc_lo, 31, v11
	s_wait_alu 0xfffd
	v_cndmask_b32_e32 v10, 0x7c00, v10, vcc_lo
	v_cmp_gt_i32_e32 vcc_lo, 31, v13
	s_wait_alu 0xfffd
	v_cndmask_b32_e32 v12, 0x7c00, v12, vcc_lo
	;; [unrolled: 3-line block ×4, first 2 shown]
	v_cmp_eq_u32_e32 vcc_lo, 0x40f, v11
	s_wait_alu 0xfffd
	v_cndmask_b32_e32 v2, v10, v2, vcc_lo
	v_cmp_eq_u32_e32 vcc_lo, 0x40f, v15
	s_delay_alu instid0(VALU_DEP_2) | instskip(SKIP_3) | instid1(VALU_DEP_2)
	v_and_or_b32 v2, 0x8000, v3, v2
	s_wait_alu 0xfffd
	v_cndmask_b32_e32 v6, v14, v6, vcc_lo
	v_cmp_eq_u32_e32 vcc_lo, 0x40f, v13
	v_and_or_b32 v3, 0x8000, v7, v6
	s_wait_alu 0xfffd
	v_cndmask_b32_e32 v4, v12, v4, vcc_lo
	v_cmp_eq_u32_e32 vcc_lo, 0x40f, v17
	v_and_b32_e32 v6, 0xffff, v2
	v_and_b32_e32 v7, 0xffff, v3
	s_delay_alu instid0(VALU_DEP_4)
	v_and_or_b32 v4, 0x8000, v5, v4
	s_wait_alu 0xfffd
	v_cndmask_b32_e32 v8, v16, v8, vcc_lo
	v_add_co_u32 v0, vcc_lo, v0, s12
	s_wait_alu 0xfffd
	v_add_co_ci_u32_e32 v1, vcc_lo, s13, v1, vcc_lo
	s_delay_alu instid0(VALU_DEP_3) | instskip(NEXT) | instid1(VALU_DEP_3)
	v_and_or_b32 v5, 0x8000, v9, v8
	v_add_co_u32 v2, vcc_lo, v0, s8
	v_lshl_or_b32 v4, v4, 16, v6
	s_wait_alu 0xfffd
	v_add_co_ci_u32_e32 v3, vcc_lo, s9, v1, vcc_lo
	v_lshl_or_b32 v5, v5, 16, v7
	global_store_b32 v[0:1], v4, off
	global_store_b32 v[2:3], v5, off
.LBB0_31:
	s_nop 0
	s_sendmsg sendmsg(MSG_DEALLOC_VGPRS)
	s_endpgm
	.section	.rodata,"a",@progbits
	.p2align	6, 0x0
	.amdhsa_kernel bluestein_single_back_len2002_dim1_half_op_CI_CI
		.amdhsa_group_segment_fixed_size 8008
		.amdhsa_private_segment_fixed_size 0
		.amdhsa_kernarg_size 104
		.amdhsa_user_sgpr_count 2
		.amdhsa_user_sgpr_dispatch_ptr 0
		.amdhsa_user_sgpr_queue_ptr 0
		.amdhsa_user_sgpr_kernarg_segment_ptr 1
		.amdhsa_user_sgpr_dispatch_id 0
		.amdhsa_user_sgpr_private_segment_size 0
		.amdhsa_wavefront_size32 1
		.amdhsa_uses_dynamic_stack 0
		.amdhsa_enable_private_segment 0
		.amdhsa_system_sgpr_workgroup_id_x 1
		.amdhsa_system_sgpr_workgroup_id_y 0
		.amdhsa_system_sgpr_workgroup_id_z 0
		.amdhsa_system_sgpr_workgroup_info 0
		.amdhsa_system_vgpr_workitem_id 0
		.amdhsa_next_free_vgpr 251
		.amdhsa_next_free_sgpr 18
		.amdhsa_reserve_vcc 1
		.amdhsa_float_round_mode_32 0
		.amdhsa_float_round_mode_16_64 0
		.amdhsa_float_denorm_mode_32 3
		.amdhsa_float_denorm_mode_16_64 3
		.amdhsa_fp16_overflow 0
		.amdhsa_workgroup_processor_mode 1
		.amdhsa_memory_ordered 1
		.amdhsa_forward_progress 0
		.amdhsa_round_robin_scheduling 0
		.amdhsa_exception_fp_ieee_invalid_op 0
		.amdhsa_exception_fp_denorm_src 0
		.amdhsa_exception_fp_ieee_div_zero 0
		.amdhsa_exception_fp_ieee_overflow 0
		.amdhsa_exception_fp_ieee_underflow 0
		.amdhsa_exception_fp_ieee_inexact 0
		.amdhsa_exception_int_div_zero 0
	.end_amdhsa_kernel
	.text
.Lfunc_end0:
	.size	bluestein_single_back_len2002_dim1_half_op_CI_CI, .Lfunc_end0-bluestein_single_back_len2002_dim1_half_op_CI_CI
                                        ; -- End function
	.section	.AMDGPU.csdata,"",@progbits
; Kernel info:
; codeLenInByte = 31488
; NumSgprs: 20
; NumVgprs: 251
; ScratchSize: 0
; MemoryBound: 0
; FloatMode: 240
; IeeeMode: 1
; LDSByteSize: 8008 bytes/workgroup (compile time only)
; SGPRBlocks: 2
; VGPRBlocks: 31
; NumSGPRsForWavesPerEU: 20
; NumVGPRsForWavesPerEU: 251
; Occupancy: 5
; WaveLimiterHint : 1
; COMPUTE_PGM_RSRC2:SCRATCH_EN: 0
; COMPUTE_PGM_RSRC2:USER_SGPR: 2
; COMPUTE_PGM_RSRC2:TRAP_HANDLER: 0
; COMPUTE_PGM_RSRC2:TGID_X_EN: 1
; COMPUTE_PGM_RSRC2:TGID_Y_EN: 0
; COMPUTE_PGM_RSRC2:TGID_Z_EN: 0
; COMPUTE_PGM_RSRC2:TIDIG_COMP_CNT: 0
	.text
	.p2alignl 7, 3214868480
	.fill 96, 4, 3214868480
	.type	__hip_cuid_4a8e778fc3c16306,@object ; @__hip_cuid_4a8e778fc3c16306
	.section	.bss,"aw",@nobits
	.globl	__hip_cuid_4a8e778fc3c16306
__hip_cuid_4a8e778fc3c16306:
	.byte	0                               ; 0x0
	.size	__hip_cuid_4a8e778fc3c16306, 1

	.ident	"AMD clang version 19.0.0git (https://github.com/RadeonOpenCompute/llvm-project roc-6.4.0 25133 c7fe45cf4b819c5991fe208aaa96edf142730f1d)"
	.section	".note.GNU-stack","",@progbits
	.addrsig
	.addrsig_sym __hip_cuid_4a8e778fc3c16306
	.amdgpu_metadata
---
amdhsa.kernels:
  - .args:
      - .actual_access:  read_only
        .address_space:  global
        .offset:         0
        .size:           8
        .value_kind:     global_buffer
      - .actual_access:  read_only
        .address_space:  global
        .offset:         8
        .size:           8
        .value_kind:     global_buffer
      - .actual_access:  read_only
        .address_space:  global
        .offset:         16
        .size:           8
        .value_kind:     global_buffer
      - .actual_access:  read_only
        .address_space:  global
        .offset:         24
        .size:           8
        .value_kind:     global_buffer
      - .actual_access:  read_only
        .address_space:  global
        .offset:         32
        .size:           8
        .value_kind:     global_buffer
      - .offset:         40
        .size:           8
        .value_kind:     by_value
      - .address_space:  global
        .offset:         48
        .size:           8
        .value_kind:     global_buffer
      - .address_space:  global
        .offset:         56
        .size:           8
        .value_kind:     global_buffer
      - .address_space:  global
        .offset:         64
        .size:           8
        .value_kind:     global_buffer
      - .address_space:  global
        .offset:         72
        .size:           8
        .value_kind:     global_buffer
      - .offset:         80
        .size:           4
        .value_kind:     by_value
      - .address_space:  global
        .offset:         88
        .size:           8
        .value_kind:     global_buffer
      - .address_space:  global
        .offset:         96
        .size:           8
        .value_kind:     global_buffer
    .group_segment_fixed_size: 8008
    .kernarg_segment_align: 8
    .kernarg_segment_size: 104
    .language:       OpenCL C
    .language_version:
      - 2
      - 0
    .max_flat_workgroup_size: 182
    .name:           bluestein_single_back_len2002_dim1_half_op_CI_CI
    .private_segment_fixed_size: 0
    .sgpr_count:     20
    .sgpr_spill_count: 0
    .symbol:         bluestein_single_back_len2002_dim1_half_op_CI_CI.kd
    .uniform_work_group_size: 1
    .uses_dynamic_stack: false
    .vgpr_count:     251
    .vgpr_spill_count: 0
    .wavefront_size: 32
    .workgroup_processor_mode: 1
amdhsa.target:   amdgcn-amd-amdhsa--gfx1201
amdhsa.version:
  - 1
  - 2
...

	.end_amdgpu_metadata
